;; amdgpu-corpus repo=ROCm/rocFFT kind=compiled arch=gfx1201 opt=O3
	.text
	.amdgcn_target "amdgcn-amd-amdhsa--gfx1201"
	.amdhsa_code_object_version 6
	.protected	fft_rtc_fwd_len208_factors_2_8_13_wgs_247_tpt_13_dim3_sp_ip_CI_sbcc_twdbase8_2step_dirReg_intrinsicReadWrite ; -- Begin function fft_rtc_fwd_len208_factors_2_8_13_wgs_247_tpt_13_dim3_sp_ip_CI_sbcc_twdbase8_2step_dirReg_intrinsicReadWrite
	.globl	fft_rtc_fwd_len208_factors_2_8_13_wgs_247_tpt_13_dim3_sp_ip_CI_sbcc_twdbase8_2step_dirReg_intrinsicReadWrite
	.p2align	8
	.type	fft_rtc_fwd_len208_factors_2_8_13_wgs_247_tpt_13_dim3_sp_ip_CI_sbcc_twdbase8_2step_dirReg_intrinsicReadWrite,@function
fft_rtc_fwd_len208_factors_2_8_13_wgs_247_tpt_13_dim3_sp_ip_CI_sbcc_twdbase8_2step_dirReg_intrinsicReadWrite: ; @fft_rtc_fwd_len208_factors_2_8_13_wgs_247_tpt_13_dim3_sp_ip_CI_sbcc_twdbase8_2step_dirReg_intrinsicReadWrite
; %bb.0:
	s_load_b128 s[4:7], s[0:1], 0x10
	s_mov_b32 s11, 0
	s_mov_b32 s2, 0x50d6f500
	;; [unrolled: 1-line block ×4, first 2 shown]
	s_delay_alu instid0(SALU_CYCLE_1) | instskip(SKIP_3) | instid1(SALU_CYCLE_1)
	s_add_nc_u64 s[8:9], s[10:11], s[2:3]
	s_movk_i32 s2, 0xffed
	s_mov_b32 s3, -1
	s_add_co_i32 s9, s9, 0xd794330
	s_mul_u64 s[12:13], s[8:9], s[2:3]
	s_delay_alu instid0(SALU_CYCLE_1)
	s_mul_hi_u32 s15, s8, s13
	s_mul_i32 s14, s8, s13
	s_mul_hi_u32 s10, s8, s12
	s_mul_i32 s17, s9, s12
	s_add_nc_u64 s[14:15], s[10:11], s[14:15]
	s_mul_hi_u32 s16, s9, s12
	s_mul_hi_u32 s18, s9, s13
	s_wait_kmcnt 0x0
	s_load_b64 s[2:3], s[4:5], 0x8
	s_add_co_u32 s10, s14, s17
	s_add_co_ci_u32 s10, s15, s16
	s_mul_i32 s12, s9, s13
	s_add_co_ci_u32 s13, s18, 0
	s_delay_alu instid0(SALU_CYCLE_1) | instskip(NEXT) | instid1(SALU_CYCLE_1)
	s_add_nc_u64 s[12:13], s[10:11], s[12:13]
	v_add_co_u32 v1, s8, s8, s12
	s_delay_alu instid0(VALU_DEP_1) | instskip(SKIP_1) | instid1(VALU_DEP_1)
	s_cmp_lg_u32 s8, 0
	s_add_co_ci_u32 s14, s9, s13
	v_readfirstlane_b32 s15, v1
	s_wait_kmcnt 0x0
	s_add_nc_u64 s[8:9], s[2:3], -1
	s_wait_alu 0xfffe
	s_mul_hi_u32 s13, s8, s14
	s_mul_i32 s12, s8, s14
	s_mul_hi_u32 s10, s8, s15
	s_mul_hi_u32 s17, s9, s15
	s_mul_i32 s15, s9, s15
	s_wait_alu 0xfffe
	s_add_nc_u64 s[12:13], s[10:11], s[12:13]
	s_mul_hi_u32 s16, s9, s14
	s_wait_alu 0xfffe
	s_add_co_u32 s10, s12, s15
	s_add_co_ci_u32 s10, s13, s17
	s_mul_i32 s14, s9, s14
	s_add_co_ci_u32 s15, s16, 0
	s_delay_alu instid0(SALU_CYCLE_1) | instskip(SKIP_2) | instid1(SALU_CYCLE_1)
	s_add_nc_u64 s[12:13], s[10:11], s[14:15]
	s_wait_alu 0xfffe
	s_mul_u64 s[14:15], s[12:13], 19
	v_sub_co_u32 v1, s8, s8, s14
	s_delay_alu instid0(VALU_DEP_1) | instskip(SKIP_1) | instid1(VALU_DEP_1)
	s_cmp_lg_u32 s8, 0
	s_sub_co_ci_u32 s16, s9, s15
	v_sub_co_u32 v2, s10, v1, 19
	s_delay_alu instid0(VALU_DEP_1) | instskip(SKIP_2) | instid1(VALU_DEP_1)
	s_cmp_lg_u32 s10, 0
	s_add_nc_u64 s[14:15], s[12:13], 2
	s_sub_co_ci_u32 s10, s16, 0
	v_readfirstlane_b32 s8, v2
	s_delay_alu instid0(VALU_DEP_1)
	s_cmp_gt_u32 s8, 18
	s_add_nc_u64 s[8:9], s[12:13], 1
	s_cselect_b32 s17, -1, 0
	s_cmp_eq_u32 s10, 0
	s_cselect_b32 s10, s17, -1
	v_readfirstlane_b32 s17, v1
	s_cmp_lg_u32 s10, 0
	s_wait_alu 0xfffe
	s_cselect_b32 s8, s14, s8
	s_cselect_b32 s9, s15, s9
	s_cmp_gt_u32 s17, 18
	s_cselect_b32 s10, -1, 0
	s_cmp_eq_u32 s16, 0
	s_mov_b64 s[16:17], 0
	s_cselect_b32 s10, s10, -1
	s_delay_alu instid0(SALU_CYCLE_1)
	s_cmp_lg_u32 s10, 0
	s_mov_b32 s10, ttmp9
	s_wait_alu 0xfffe
	s_cselect_b32 s9, s9, s13
	s_cselect_b32 s8, s8, s12
	s_wait_alu 0xfffe
	s_add_nc_u64 s[12:13], s[8:9], 1
	s_wait_alu 0xfffe
	v_cmp_lt_u64_e64 s8, s[10:11], s[12:13]
	s_delay_alu instid0(VALU_DEP_1)
	s_and_b32 vcc_lo, exec_lo, s8
	s_cbranch_vccnz .LBB0_2
; %bb.1:
	v_cvt_f32_u32_e32 v1, s12
	s_sub_co_i32 s9, 0, s12
	s_mov_b32 s17, s11
	s_delay_alu instid0(VALU_DEP_1) | instskip(NEXT) | instid1(TRANS32_DEP_1)
	v_rcp_iflag_f32_e32 v1, v1
	v_mul_f32_e32 v1, 0x4f7ffffe, v1
	s_delay_alu instid0(VALU_DEP_1) | instskip(NEXT) | instid1(VALU_DEP_1)
	v_cvt_u32_f32_e32 v1, v1
	v_readfirstlane_b32 s8, v1
	s_wait_alu 0xfffe
	s_delay_alu instid0(VALU_DEP_1)
	s_mul_i32 s9, s9, s8
	s_wait_alu 0xfffe
	s_mul_hi_u32 s9, s8, s9
	s_wait_alu 0xfffe
	s_add_co_i32 s8, s8, s9
	s_wait_alu 0xfffe
	s_mul_hi_u32 s8, s10, s8
	s_wait_alu 0xfffe
	s_mul_i32 s9, s8, s12
	s_add_co_i32 s14, s8, 1
	s_wait_alu 0xfffe
	s_sub_co_i32 s9, s10, s9
	s_wait_alu 0xfffe
	s_sub_co_i32 s15, s9, s12
	s_cmp_ge_u32 s9, s12
	s_cselect_b32 s8, s14, s8
	s_wait_alu 0xfffe
	s_cselect_b32 s9, s15, s9
	s_add_co_i32 s14, s8, 1
	s_wait_alu 0xfffe
	s_cmp_ge_u32 s9, s12
	s_cselect_b32 s16, s14, s8
.LBB0_2:
	s_load_b64 s[22:23], s[4:5], 0x10
	s_load_b64 s[14:15], s[6:7], 0x8
	s_mov_b64 s[18:19], s[16:17]
	s_wait_kmcnt 0x0
	v_cmp_lt_u64_e64 s4, s[16:17], s[22:23]
	s_delay_alu instid0(VALU_DEP_1)
	s_and_b32 vcc_lo, exec_lo, s4
	s_cbranch_vccnz .LBB0_4
; %bb.3:
	v_cvt_f32_u32_e32 v1, s22
	s_sub_co_i32 s5, 0, s22
	s_mov_b32 s19, 0
	s_delay_alu instid0(VALU_DEP_1) | instskip(NEXT) | instid1(TRANS32_DEP_1)
	v_rcp_iflag_f32_e32 v1, v1
	v_mul_f32_e32 v1, 0x4f7ffffe, v1
	s_delay_alu instid0(VALU_DEP_1) | instskip(NEXT) | instid1(VALU_DEP_1)
	v_cvt_u32_f32_e32 v1, v1
	v_readfirstlane_b32 s4, v1
	s_delay_alu instid0(VALU_DEP_1) | instskip(NEXT) | instid1(SALU_CYCLE_1)
	s_mul_i32 s5, s5, s4
	s_mul_hi_u32 s5, s4, s5
	s_delay_alu instid0(SALU_CYCLE_1) | instskip(NEXT) | instid1(SALU_CYCLE_1)
	s_add_co_i32 s4, s4, s5
	s_mul_hi_u32 s4, s16, s4
	s_delay_alu instid0(SALU_CYCLE_1) | instskip(NEXT) | instid1(SALU_CYCLE_1)
	s_mul_i32 s4, s4, s22
	s_sub_co_i32 s4, s16, s4
	s_delay_alu instid0(SALU_CYCLE_1) | instskip(SKIP_2) | instid1(SALU_CYCLE_1)
	s_sub_co_i32 s5, s4, s22
	s_cmp_ge_u32 s4, s22
	s_cselect_b32 s4, s5, s4
	s_sub_co_i32 s5, s4, s22
	s_cmp_ge_u32 s4, s22
	s_cselect_b32 s18, s5, s4
.LBB0_4:
	s_load_b64 s[4:5], s[0:1], 0x50
	s_clause 0x1
	s_load_b64 s[8:9], s[6:7], 0x0
	s_load_b64 s[20:21], s[6:7], 0x10
	s_mul_u64 s[24:25], s[22:23], s[12:13]
	s_mov_b64 s[22:23], 0
	s_wait_kmcnt 0x0
	v_cmp_lt_u64_e64 s9, s[10:11], s[24:25]
	s_delay_alu instid0(VALU_DEP_1)
	s_and_b32 vcc_lo, exec_lo, s9
	s_cbranch_vccnz .LBB0_6
; %bb.5:
	v_cvt_f32_u32_e32 v1, s24
	s_sub_co_i32 s22, 0, s24
	s_delay_alu instid0(VALU_DEP_1) | instskip(NEXT) | instid1(TRANS32_DEP_1)
	v_rcp_iflag_f32_e32 v1, v1
	v_mul_f32_e32 v1, 0x4f7ffffe, v1
	s_delay_alu instid0(VALU_DEP_1) | instskip(NEXT) | instid1(VALU_DEP_1)
	v_cvt_u32_f32_e32 v1, v1
	v_readfirstlane_b32 s9, v1
	s_wait_alu 0xfffe
	s_delay_alu instid0(VALU_DEP_1)
	s_mul_i32 s22, s22, s9
	s_wait_alu 0xfffe
	s_mul_hi_u32 s22, s9, s22
	s_wait_alu 0xfffe
	s_add_co_i32 s9, s9, s22
	s_wait_alu 0xfffe
	s_mul_hi_u32 s9, s10, s9
	s_wait_alu 0xfffe
	s_mul_i32 s22, s9, s24
	s_add_co_i32 s23, s9, 1
	s_wait_alu 0xfffe
	s_sub_co_i32 s22, s10, s22
	s_wait_alu 0xfffe
	s_sub_co_i32 s25, s22, s24
	s_cmp_ge_u32 s22, s24
	s_cselect_b32 s9, s23, s9
	s_wait_alu 0xfffe
	s_cselect_b32 s22, s25, s22
	s_add_co_i32 s25, s9, 1
	s_wait_alu 0xfffe
	s_cmp_ge_u32 s22, s24
	s_mov_b32 s23, 0
	s_cselect_b32 s22, s25, s9
.LBB0_6:
	v_mul_u32_u24_e32 v1, 0xd7a, v0
	s_load_b64 s[6:7], s[6:7], 0x18
	s_mul_u64 s[12:13], s[16:17], s[12:13]
	v_mov_b32_e32 v4, 0
	s_wait_alu 0xfffe
	s_sub_nc_u64 s[10:11], s[10:11], s[12:13]
	v_lshrrev_b32_e32 v140, 16, v1
	s_wait_alu 0xfffe
	s_mul_u64 s[10:11], s[10:11], 19
	s_mul_u64 s[12:13], s[20:21], s[18:19]
	s_wait_alu 0xfffe
	s_add_nc_u64 s[18:19], s[10:11], 19
	s_mul_u64 s[16:17], s[14:15], s[10:11]
	v_mul_lo_u16 v1, v140, 19
	s_wait_alu 0xfffe
	s_add_nc_u64 s[12:13], s[12:13], s[16:17]
	s_delay_alu instid0(VALU_DEP_1) | instskip(NEXT) | instid1(VALU_DEP_1)
	v_sub_nc_u16 v1, v0, v1
	v_and_b32_e32 v35, 0xffff, v1
	s_wait_kmcnt 0x0
	s_mul_u64 s[6:7], s[6:7], s[22:23]
	s_wait_alu 0xfffe
	s_add_nc_u64 s[6:7], s[6:7], s[12:13]
	v_mad_co_u64_u32 v[33:34], null, s14, v35, 0
	v_add_co_u32 v86, s9, s10, v35
	s_wait_alu 0xf1ff
	v_add_co_ci_u32_e64 v87, null, s11, 0, s9
	v_cmp_le_u64_e64 s9, s[18:19], s[2:3]
	s_delay_alu instid0(VALU_DEP_4) | instskip(NEXT) | instid1(VALU_DEP_3)
	v_mov_b32_e32 v1, v34
	v_cmp_gt_u64_e32 vcc_lo, s[2:3], v[86:87]
	s_delay_alu instid0(VALU_DEP_2)
	v_mad_co_u64_u32 v[1:2], null, s15, v35, v[1:2]
	v_dual_mov_b32 v2, 0 :: v_dual_mov_b32 v1, 0
	s_or_b32 s3, s9, vcc_lo
	s_wait_alu 0xfffe
	s_and_saveexec_b32 s7, s3
	s_cbranch_execz .LBB0_8
; %bb.7:
	v_mul_lo_u32 v1, s8, v140
	v_mov_b32_e32 v2, 0
	s_delay_alu instid0(VALU_DEP_2) | instskip(NEXT) | instid1(VALU_DEP_1)
	v_add3_u32 v1, s6, v33, v1
	v_lshlrev_b64_e32 v[1:2], 3, v[1:2]
	s_delay_alu instid0(VALU_DEP_1) | instskip(SKIP_1) | instid1(VALU_DEP_2)
	v_add_co_u32 v1, s2, s4, v1
	s_wait_alu 0xf1ff
	v_add_co_ci_u32_e64 v2, s2, s5, v2, s2
	global_load_b64 v[1:2], v[1:2], off
.LBB0_8:
	s_or_b32 exec_lo, exec_lo, s7
	v_mov_b32_e32 v3, 0
	s_and_saveexec_b32 s7, s3
	s_cbranch_execz .LBB0_10
; %bb.9:
	v_dual_mov_b32 v4, 0 :: v_dual_add_nc_u32 v3, 0x68, v140
	s_delay_alu instid0(VALU_DEP_1) | instskip(NEXT) | instid1(VALU_DEP_1)
	v_mul_lo_u32 v3, s8, v3
	v_add3_u32 v3, s6, v33, v3
	s_delay_alu instid0(VALU_DEP_1) | instskip(NEXT) | instid1(VALU_DEP_1)
	v_lshlrev_b64_e32 v[3:4], 3, v[3:4]
	v_add_co_u32 v3, s2, s4, v3
	s_wait_alu 0xf1ff
	s_delay_alu instid0(VALU_DEP_2)
	v_add_co_ci_u32_e64 v4, s2, s5, v4, s2
	global_load_b64 v[3:4], v[3:4], off
.LBB0_10:
	s_wait_alu 0xfffe
	s_or_b32 exec_lo, exec_lo, s7
	v_dual_mov_b32 v8, 0 :: v_dual_add_nc_u32 v139, 13, v140
	v_dual_mov_b32 v6, 0 :: v_dual_mov_b32 v5, 0
	s_and_saveexec_b32 s7, s3
	s_cbranch_execz .LBB0_12
; %bb.11:
	s_delay_alu instid0(VALU_DEP_2) | instskip(SKIP_1) | instid1(VALU_DEP_2)
	v_mul_lo_u32 v5, s8, v139
	v_mov_b32_e32 v6, 0
	v_add3_u32 v5, s6, v33, v5
	s_delay_alu instid0(VALU_DEP_1) | instskip(NEXT) | instid1(VALU_DEP_1)
	v_lshlrev_b64_e32 v[5:6], 3, v[5:6]
	v_add_co_u32 v5, s2, s4, v5
	s_wait_alu 0xf1ff
	s_delay_alu instid0(VALU_DEP_2)
	v_add_co_ci_u32_e64 v6, s2, s5, v6, s2
	global_load_b64 v[5:6], v[5:6], off
.LBB0_12:
	s_wait_alu 0xfffe
	s_or_b32 exec_lo, exec_lo, s7
	v_mov_b32_e32 v7, 0
	s_and_saveexec_b32 s7, s3
	s_cbranch_execz .LBB0_14
; %bb.13:
	v_dual_mov_b32 v8, 0 :: v_dual_add_nc_u32 v7, 0x75, v140
	s_delay_alu instid0(VALU_DEP_1) | instskip(NEXT) | instid1(VALU_DEP_1)
	v_mul_lo_u32 v7, s8, v7
	v_add3_u32 v7, s6, v33, v7
	s_delay_alu instid0(VALU_DEP_1) | instskip(NEXT) | instid1(VALU_DEP_1)
	v_lshlrev_b64_e32 v[7:8], 3, v[7:8]
	v_add_co_u32 v7, s2, s4, v7
	s_wait_alu 0xf1ff
	s_delay_alu instid0(VALU_DEP_2)
	v_add_co_ci_u32_e64 v8, s2, s5, v8, s2
	global_load_b64 v[7:8], v[7:8], off
.LBB0_14:
	s_wait_alu 0xfffe
	s_or_b32 exec_lo, exec_lo, s7
	v_dual_mov_b32 v12, 0 :: v_dual_mov_b32 v9, 0
	v_mov_b32_e32 v10, 0
	s_and_saveexec_b32 s7, s3
	s_cbranch_execz .LBB0_16
; %bb.15:
	v_dual_mov_b32 v10, 0 :: v_dual_add_nc_u32 v9, 26, v140
	s_delay_alu instid0(VALU_DEP_1) | instskip(NEXT) | instid1(VALU_DEP_1)
	v_mul_lo_u32 v9, s8, v9
	v_add3_u32 v9, s6, v33, v9
	s_delay_alu instid0(VALU_DEP_1) | instskip(NEXT) | instid1(VALU_DEP_1)
	v_lshlrev_b64_e32 v[9:10], 3, v[9:10]
	v_add_co_u32 v9, s2, s4, v9
	s_wait_alu 0xf1ff
	s_delay_alu instid0(VALU_DEP_2)
	v_add_co_ci_u32_e64 v10, s2, s5, v10, s2
	global_load_b64 v[9:10], v[9:10], off
.LBB0_16:
	s_wait_alu 0xfffe
	s_or_b32 exec_lo, exec_lo, s7
	v_mov_b32_e32 v11, 0
	s_and_saveexec_b32 s7, s3
	s_cbranch_execz .LBB0_18
; %bb.17:
	v_dual_mov_b32 v12, 0 :: v_dual_add_nc_u32 v11, 0x82, v140
	s_delay_alu instid0(VALU_DEP_1) | instskip(NEXT) | instid1(VALU_DEP_1)
	v_mul_lo_u32 v11, s8, v11
	v_add3_u32 v11, s6, v33, v11
	s_delay_alu instid0(VALU_DEP_1) | instskip(NEXT) | instid1(VALU_DEP_1)
	v_lshlrev_b64_e32 v[11:12], 3, v[11:12]
	v_add_co_u32 v11, s2, s4, v11
	s_wait_alu 0xf1ff
	s_delay_alu instid0(VALU_DEP_2)
	v_add_co_ci_u32_e64 v12, s2, s5, v12, s2
	global_load_b64 v[11:12], v[11:12], off
.LBB0_18:
	s_wait_alu 0xfffe
	s_or_b32 exec_lo, exec_lo, s7
	v_dual_mov_b32 v16, 0 :: v_dual_mov_b32 v13, 0
	v_mov_b32_e32 v14, 0
	s_and_saveexec_b32 s7, s3
	s_cbranch_execz .LBB0_20
; %bb.19:
	v_dual_mov_b32 v14, 0 :: v_dual_add_nc_u32 v13, 39, v140
	s_delay_alu instid0(VALU_DEP_1) | instskip(NEXT) | instid1(VALU_DEP_1)
	v_mul_lo_u32 v13, s8, v13
	v_add3_u32 v13, s6, v33, v13
	s_delay_alu instid0(VALU_DEP_1) | instskip(NEXT) | instid1(VALU_DEP_1)
	v_lshlrev_b64_e32 v[13:14], 3, v[13:14]
	v_add_co_u32 v13, s2, s4, v13
	s_wait_alu 0xf1ff
	s_delay_alu instid0(VALU_DEP_2)
	v_add_co_ci_u32_e64 v14, s2, s5, v14, s2
	global_load_b64 v[13:14], v[13:14], off
.LBB0_20:
	s_wait_alu 0xfffe
	s_or_b32 exec_lo, exec_lo, s7
	v_mov_b32_e32 v15, 0
	s_and_saveexec_b32 s7, s3
	s_cbranch_execz .LBB0_22
; %bb.21:
	v_dual_mov_b32 v16, 0 :: v_dual_add_nc_u32 v15, 0x8f, v140
	s_delay_alu instid0(VALU_DEP_1) | instskip(NEXT) | instid1(VALU_DEP_1)
	v_mul_lo_u32 v15, s8, v15
	v_add3_u32 v15, s6, v33, v15
	s_delay_alu instid0(VALU_DEP_1) | instskip(NEXT) | instid1(VALU_DEP_1)
	v_lshlrev_b64_e32 v[15:16], 3, v[15:16]
	v_add_co_u32 v15, s2, s4, v15
	s_wait_alu 0xf1ff
	s_delay_alu instid0(VALU_DEP_2)
	v_add_co_ci_u32_e64 v16, s2, s5, v16, s2
	global_load_b64 v[15:16], v[15:16], off
.LBB0_22:
	s_wait_alu 0xfffe
	s_or_b32 exec_lo, exec_lo, s7
	v_dual_mov_b32 v17, 0 :: v_dual_add_nc_u32 v34, 52, v140
	v_mov_b32_e32 v20, 0
	v_mov_b32_e32 v18, 0
	s_and_saveexec_b32 s7, s3
	s_cbranch_execz .LBB0_24
; %bb.23:
	v_mul_lo_u32 v17, s8, v34
	v_mov_b32_e32 v18, 0
	s_delay_alu instid0(VALU_DEP_2) | instskip(NEXT) | instid1(VALU_DEP_1)
	v_add3_u32 v17, s6, v33, v17
	v_lshlrev_b64_e32 v[17:18], 3, v[17:18]
	s_delay_alu instid0(VALU_DEP_1) | instskip(SKIP_1) | instid1(VALU_DEP_2)
	v_add_co_u32 v17, s2, s4, v17
	s_wait_alu 0xf1ff
	v_add_co_ci_u32_e64 v18, s2, s5, v18, s2
	global_load_b64 v[17:18], v[17:18], off
.LBB0_24:
	s_wait_alu 0xfffe
	s_or_b32 exec_lo, exec_lo, s7
	v_mov_b32_e32 v19, 0
	s_and_saveexec_b32 s7, s3
	s_cbranch_execz .LBB0_26
; %bb.25:
	v_dual_mov_b32 v20, 0 :: v_dual_add_nc_u32 v19, 0x9c, v140
	s_delay_alu instid0(VALU_DEP_1) | instskip(NEXT) | instid1(VALU_DEP_1)
	v_mul_lo_u32 v19, s8, v19
	v_add3_u32 v19, s6, v33, v19
	s_delay_alu instid0(VALU_DEP_1) | instskip(NEXT) | instid1(VALU_DEP_1)
	v_lshlrev_b64_e32 v[19:20], 3, v[19:20]
	v_add_co_u32 v19, s2, s4, v19
	s_wait_alu 0xf1ff
	s_delay_alu instid0(VALU_DEP_2)
	v_add_co_ci_u32_e64 v20, s2, s5, v20, s2
	global_load_b64 v[19:20], v[19:20], off
.LBB0_26:
	s_wait_alu 0xfffe
	s_or_b32 exec_lo, exec_lo, s7
	v_dual_mov_b32 v24, 0 :: v_dual_mov_b32 v21, 0
	v_mov_b32_e32 v22, 0
	s_and_saveexec_b32 s7, s3
	s_cbranch_execz .LBB0_28
; %bb.27:
	v_dual_mov_b32 v22, 0 :: v_dual_add_nc_u32 v21, 0x41, v140
	s_delay_alu instid0(VALU_DEP_1) | instskip(NEXT) | instid1(VALU_DEP_1)
	v_mul_lo_u32 v21, s8, v21
	v_add3_u32 v21, s6, v33, v21
	s_delay_alu instid0(VALU_DEP_1) | instskip(NEXT) | instid1(VALU_DEP_1)
	v_lshlrev_b64_e32 v[21:22], 3, v[21:22]
	v_add_co_u32 v21, s2, s4, v21
	s_wait_alu 0xf1ff
	s_delay_alu instid0(VALU_DEP_2)
	v_add_co_ci_u32_e64 v22, s2, s5, v22, s2
	global_load_b64 v[21:22], v[21:22], off
.LBB0_28:
	s_wait_alu 0xfffe
	s_or_b32 exec_lo, exec_lo, s7
	v_mov_b32_e32 v23, 0
	s_and_saveexec_b32 s7, s3
	s_cbranch_execz .LBB0_30
; %bb.29:
	v_dual_mov_b32 v24, 0 :: v_dual_add_nc_u32 v23, 0xa9, v140
	s_delay_alu instid0(VALU_DEP_1) | instskip(NEXT) | instid1(VALU_DEP_1)
	v_mul_lo_u32 v23, s8, v23
	v_add3_u32 v23, s6, v33, v23
	s_delay_alu instid0(VALU_DEP_1) | instskip(NEXT) | instid1(VALU_DEP_1)
	v_lshlrev_b64_e32 v[23:24], 3, v[23:24]
	v_add_co_u32 v23, s2, s4, v23
	s_wait_alu 0xf1ff
	s_delay_alu instid0(VALU_DEP_2)
	v_add_co_ci_u32_e64 v24, s2, s5, v24, s2
	global_load_b64 v[23:24], v[23:24], off
.LBB0_30:
	s_wait_alu 0xfffe
	s_or_b32 exec_lo, exec_lo, s7
	v_dual_mov_b32 v25, 0 :: v_dual_add_nc_u32 v36, 0x4e, v140
	v_mov_b32_e32 v28, 0
	v_mov_b32_e32 v26, 0
	s_and_saveexec_b32 s7, s3
	s_cbranch_execz .LBB0_32
; %bb.31:
	v_mul_lo_u32 v25, s8, v36
	v_mov_b32_e32 v26, 0
	s_delay_alu instid0(VALU_DEP_2) | instskip(NEXT) | instid1(VALU_DEP_1)
	v_add3_u32 v25, s6, v33, v25
	v_lshlrev_b64_e32 v[25:26], 3, v[25:26]
	s_delay_alu instid0(VALU_DEP_1) | instskip(SKIP_1) | instid1(VALU_DEP_2)
	v_add_co_u32 v25, s2, s4, v25
	s_wait_alu 0xf1ff
	v_add_co_ci_u32_e64 v26, s2, s5, v26, s2
	global_load_b64 v[25:26], v[25:26], off
.LBB0_32:
	s_wait_alu 0xfffe
	s_or_b32 exec_lo, exec_lo, s7
	v_mov_b32_e32 v27, 0
	s_and_saveexec_b32 s7, s3
	s_cbranch_execz .LBB0_34
; %bb.33:
	v_dual_mov_b32 v28, 0 :: v_dual_add_nc_u32 v27, 0xb6, v140
	s_delay_alu instid0(VALU_DEP_1) | instskip(NEXT) | instid1(VALU_DEP_1)
	v_mul_lo_u32 v27, s8, v27
	v_add3_u32 v27, s6, v33, v27
	s_delay_alu instid0(VALU_DEP_1) | instskip(NEXT) | instid1(VALU_DEP_1)
	v_lshlrev_b64_e32 v[27:28], 3, v[27:28]
	v_add_co_u32 v27, s2, s4, v27
	s_wait_alu 0xf1ff
	s_delay_alu instid0(VALU_DEP_2)
	v_add_co_ci_u32_e64 v28, s2, s5, v28, s2
	global_load_b64 v[27:28], v[27:28], off
.LBB0_34:
	s_wait_alu 0xfffe
	s_or_b32 exec_lo, exec_lo, s7
	s_load_b64 s[10:11], s[0:1], 0x0
	v_dual_mov_b32 v32, 0 :: v_dual_mov_b32 v29, 0
	v_mov_b32_e32 v30, 0
	s_and_saveexec_b32 s7, s3
	s_cbranch_execz .LBB0_36
; %bb.35:
	v_dual_mov_b32 v30, 0 :: v_dual_add_nc_u32 v29, 0x5b, v140
	s_delay_alu instid0(VALU_DEP_1) | instskip(NEXT) | instid1(VALU_DEP_1)
	v_mul_lo_u32 v29, s8, v29
	v_add3_u32 v29, s6, v33, v29
	s_delay_alu instid0(VALU_DEP_1) | instskip(NEXT) | instid1(VALU_DEP_1)
	v_lshlrev_b64_e32 v[29:30], 3, v[29:30]
	v_add_co_u32 v29, s2, s4, v29
	s_wait_alu 0xf1ff
	s_delay_alu instid0(VALU_DEP_2)
	v_add_co_ci_u32_e64 v30, s2, s5, v30, s2
	global_load_b64 v[29:30], v[29:30], off
.LBB0_36:
	s_wait_alu 0xfffe
	s_or_b32 exec_lo, exec_lo, s7
	v_mov_b32_e32 v31, 0
	s_and_saveexec_b32 s7, s3
	s_cbranch_execz .LBB0_38
; %bb.37:
	v_dual_mov_b32 v32, 0 :: v_dual_add_nc_u32 v31, 0xc3, v140
	s_delay_alu instid0(VALU_DEP_1) | instskip(NEXT) | instid1(VALU_DEP_1)
	v_mul_lo_u32 v31, s8, v31
	v_add3_u32 v31, s6, v33, v31
	s_delay_alu instid0(VALU_DEP_1) | instskip(NEXT) | instid1(VALU_DEP_1)
	v_lshlrev_b64_e32 v[31:32], 3, v[31:32]
	v_add_co_u32 v31, s2, s4, v31
	s_wait_alu 0xf1ff
	s_delay_alu instid0(VALU_DEP_2)
	v_add_co_ci_u32_e64 v32, s2, s5, v32, s2
	global_load_b64 v[31:32], v[31:32], off
.LBB0_38:
	s_wait_alu 0xfffe
	s_or_b32 exec_lo, exec_lo, s7
	s_wait_loadcnt 0x0
	v_dual_sub_f32 v37, v17, v19 :: v_dual_sub_f32 v38, v18, v20
	v_dual_sub_f32 v19, v21, v23 :: v_dual_sub_f32 v20, v22, v24
	v_mul_u32_u24_e32 v24, 0x130, v140
	v_lshlrev_b32_e32 v56, 3, v35
	v_dual_sub_f32 v3, v1, v3 :: v_dual_sub_f32 v4, v2, v4
	v_dual_sub_f32 v7, v5, v7 :: v_dual_sub_f32 v8, v6, v8
	;; [unrolled: 1-line block ×3, first 2 shown]
	v_sub_f32_e32 v23, v29, v31
	v_add3_u32 v35, 0, v24, v56
	v_dual_sub_f32 v24, v30, v32 :: v_dual_sub_f32 v11, v9, v11
	v_dual_sub_f32 v12, v10, v12 :: v_dual_sub_f32 v15, v13, v15
	v_sub_f32_e32 v16, v14, v16
	v_fma_f32 v1, v1, 2.0, -v3
	v_fma_f32 v2, v2, 2.0, -v4
	;; [unrolled: 1-line block ×6, first 2 shown]
	v_add_nc_u32_e32 v29, 0xc00, v35
	v_fma_f32 v9, v9, 2.0, -v11
	v_fma_f32 v10, v10, 2.0, -v12
	v_add_nc_u32_e32 v32, 0x1800, v35
	v_fma_f32 v13, v13, 2.0, -v15
	v_fma_f32 v14, v14, 2.0, -v16
	;; [unrolled: 3-line block ×3, first 2 shown]
	v_fma_f32 v21, v21, 2.0, -v19
	v_fma_f32 v22, v22, 2.0, -v20
	ds_store_2addr_b64 v35, v[1:2], v[3:4] offset1:19
	ds_store_2addr_b64 v29, v[5:6], v[7:8] offset0:110 offset1:129
	ds_store_2addr_b64 v32, v[9:10], v[11:12] offset0:220 offset1:239
	ds_store_2addr_b64 v40, v[13:14], v[15:16] offset0:202 offset1:221
	v_add_nc_u32_e32 v1, 0x3c00, v35
	v_add_nc_u32_e32 v2, 0x4800, v35
	v_and_b32_e32 v3, 1, v140
	v_fma_f32 v39, v26, 2.0, -v28
	ds_store_b64 v35, v[17:18] offset:15808
	v_add_nc_u32_e32 v4, 0x5c00, v35
	ds_store_2addr_b32 v1, v37, v38 offset0:150 offset1:151
	ds_store_2addr_b64 v2, v[21:22], v[19:20] offset0:166 offset1:185
	v_mul_u32_u24_e32 v2, 7, v3
	v_fma_f32 v26, v30, 2.0, -v24
	v_add_nc_u32_e32 v1, 0x6800, v35
	ds_store_2addr_b32 v4, v31, v39 offset0:40 offset1:41
	ds_store_2addr_b32 v4, v27, v28 offset0:78 offset1:79
	ds_store_2addr_b64 v1, v[25:26], v[23:24] offset0:130 offset1:149
	v_lshlrev_b32_e32 v1, 3, v2
	global_wb scope:SCOPE_SE
	s_wait_dscnt 0x0
	s_wait_kmcnt 0x0
	s_barrier_signal -1
	s_barrier_wait -1
	global_inv scope:SCOPE_SE
	s_clause 0x2
	global_load_b128 v[3:6], v1, s[10:11]
	global_load_b128 v[7:10], v1, s[10:11] offset:16
	global_load_b128 v[11:14], v1, s[10:11] offset:32
	v_and_b32_e32 v2, 1, v139
	v_add_nc_u32_e32 v37, 0x3dc0, v35
	v_add_nc_u32_e32 v35, 0x5ca0, v35
	s_mov_b32 s7, exec_lo
                                        ; implicit-def: $vgpr108
                                        ; implicit-def: $vgpr110
                                        ; implicit-def: $vgpr112
                                        ; implicit-def: $vgpr102
                                        ; implicit-def: $vgpr96
                                        ; implicit-def: $vgpr92
                                        ; implicit-def: $vgpr98
                                        ; implicit-def: $vgpr100
                                        ; implicit-def: $vgpr104
                                        ; implicit-def: $vgpr106
	s_delay_alu instid0(VALU_DEP_3) | instskip(NEXT) | instid1(VALU_DEP_3)
	v_mul_u32_u24_e32 v15, 7, v2
	v_mad_i32_i24 v47, 0xffffff68, v34, v37
	s_delay_alu instid0(VALU_DEP_3) | instskip(NEXT) | instid1(VALU_DEP_3)
	v_mad_i32_i24 v58, 0xffffff68, v36, v35
	v_lshlrev_b32_e32 v27, 3, v15
	s_clause 0x4
	global_load_b64 v[31:32], v1, s[10:11] offset:48
	global_load_b128 v[15:18], v27, s[10:11]
	global_load_b128 v[19:22], v27, s[10:11] offset:16
	global_load_b128 v[23:26], v27, s[10:11] offset:32
	global_load_b64 v[50:51], v27, s[10:11] offset:48
	v_mul_u32_u24_e32 v1, 0x98, v140
	v_lshl_or_b32 v27, v140, 3, v140
	v_lshlrev_b32_e32 v28, 3, v139
	s_delay_alu instid0(VALU_DEP_3) | instskip(NEXT) | instid1(VALU_DEP_3)
	v_add3_u32 v1, 0, v1, v56
	v_and_b32_e32 v27, 0x71, v27
	s_delay_alu instid0(VALU_DEP_3) | instskip(NEXT) | instid1(VALU_DEP_3)
	v_and_or_b32 v2, 0xf0, v28, v2
	v_add_nc_u32_e32 v28, 0xf40, v1
	v_add_nc_u32_e32 v38, 0x3600, v1
	;; [unrolled: 1-line block ×5, first 2 shown]
	v_mul_u32_u24_e32 v57, 0x98, v27
	ds_load_2addr_b64 v[27:30], v28 offset0:6 offset1:253
	ds_load_2addr_b64 v[34:37], v38 offset0:1 offset1:248
	;; [unrolled: 1-line block ×4, first 2 shown]
	ds_load_b64 v[52:53], v47
	ds_load_2addr_b64 v[46:49], v46 offset0:3 offset1:250
	ds_load_b64 v[54:55], v58
	v_mul_u32_u24_e32 v2, 0x98, v2
	s_wait_loadcnt_dscnt 0x706
	v_mul_f32_e32 v70, v4, v28
	s_wait_dscnt 0x2
	v_dual_mul_f32 v4, v4, v27 :: v_dual_mul_f32 v71, v6, v53
	v_mul_f32_e32 v6, v6, v52
	s_wait_loadcnt_dscnt 0x600
	v_mul_f32_e32 v72, v8, v55
	v_mul_f32_e32 v8, v8, v54
	;; [unrolled: 1-line block ×4, first 2 shown]
	s_wait_loadcnt 0x5
	v_mul_f32_e32 v74, v41, v12
	v_add3_u32 v64, 0, v57, v56
	v_add3_u32 v65, 0, v2, v56
	v_fma_f32 v52, v5, v52, -v71
	v_fmac_f32_e32 v6, v5, v53
	v_fma_f32 v5, v3, v27, -v70
	v_fmac_f32_e32 v4, v3, v28
	;; [unrolled: 2-line block ×4, first 2 shown]
	v_fma_f32 v9, v40, v11, -v74
	v_add_nc_u32_e32 v2, 0xffffd968, v58
	ds_load_b64 v[56:57], v1
	ds_load_b64 v[58:59], v1 offset:9880
	ds_load_b64 v[60:61], v1 offset:29640
	s_wait_loadcnt 0x3
	v_mul_f32_e32 v77, v30, v16
	s_wait_loadcnt 0x2
	v_mul_f32_e32 v79, v35, v20
	v_sub_f32_e32 v9, v5, v9
	v_add_nc_u32_e32 v67, 0x400, v65
	ds_load_b32 v68, v2
	ds_load_b64 v[62:63], v2
	ds_load_b32 v69, v2 offset:4
	v_fma_f32 v27, v29, v15, -v77
	v_mul_f32_e32 v20, v34, v20
	v_dual_mul_f32 v12, v40, v12 :: v_dual_mul_f32 v75, v45, v14
	v_mul_f32_e32 v76, v49, v32
	v_mul_f32_e32 v32, v48, v32
	s_delay_alu instid0(VALU_DEP_4)
	v_fmac_f32_e32 v20, v35, v19
	v_mul_f32_e32 v16, v29, v16
	v_fmac_f32_e32 v12, v41, v11
	v_fma_f32 v11, v44, v13, -v75
	s_wait_loadcnt 0x1
	v_dual_mul_f32 v14, v44, v14 :: v_dual_mul_f32 v81, v43, v24
	s_wait_dscnt 0x5
	v_sub_f32_e32 v10, v57, v10
	s_wait_loadcnt_dscnt 0x3
	v_dual_mul_f32 v78, v59, v18 :: v_dual_mul_f32 v83, v61, v51
	v_mul_f32_e32 v51, v60, v51
	v_dual_sub_f32 v11, v52, v11 :: v_dual_mul_f32 v82, v47, v26
	v_sub_f32_e32 v12, v4, v12
	v_sub_f32_e32 v7, v56, v7
	s_delay_alu instid0(VALU_DEP_4) | instskip(NEXT) | instid1(VALU_DEP_4)
	v_fmac_f32_e32 v51, v61, v50
	v_dual_mul_f32 v80, v39, v22 :: v_dual_add_f32 v35, v10, v11
	v_fma_f32 v5, v5, 2.0, -v9
	global_wb scope:SCOPE_SE
	s_wait_dscnt 0x0
	v_sub_f32_e32 v29, v20, v51
	s_barrier_signal -1
	s_barrier_wait -1
	global_inv scope:SCOPE_SE
	v_fma_f32 v20, v20, 2.0, -v29
	v_fmac_f32_e32 v32, v49, v31
	s_delay_alu instid0(VALU_DEP_1) | instskip(SKIP_2) | instid1(VALU_DEP_2)
	v_sub_f32_e32 v28, v8, v32
	v_mul_f32_e32 v22, v38, v22
	v_fma_f32 v32, v52, 2.0, -v11
	v_dual_sub_f32 v11, v9, v28 :: v_dual_fmac_f32 v22, v39, v21
	s_delay_alu instid0(VALU_DEP_1)
	v_fma_f32 v39, v9, 2.0, -v11
	v_fmac_f32_e32 v16, v30, v15
	v_fma_f32 v15, v58, v17, -v78
	v_mul_f32_e32 v18, v58, v18
	v_sub_f32_e32 v22, v63, v22
	v_fma_f32 v30, v56, 2.0, -v7
	s_delay_alu instid0(VALU_DEP_3)
	v_fmac_f32_e32 v18, v59, v17
	v_fma_f32 v17, v34, v19, -v79
	v_fma_f32 v19, v38, v21, -v80
	;; [unrolled: 1-line block ×3, first 2 shown]
	v_fma_f32 v36, v69, 2.0, -v22
	v_fmac_f32_e32 v14, v45, v13
	v_fma_f32 v13, v48, v31, -v76
	s_delay_alu instid0(VALU_DEP_4) | instskip(SKIP_2) | instid1(VALU_DEP_4)
	v_dual_sub_f32 v21, v27, v21 :: v_dual_add_nc_u32 v66, 0x400, v64
	v_mul_f32_e32 v26, v46, v26
	v_sub_f32_e32 v19, v62, v19
	v_dual_sub_f32 v13, v3, v13 :: v_dual_mul_f32 v24, v42, v24
	v_fma_f32 v31, v57, 2.0, -v10
	s_delay_alu instid0(VALU_DEP_4) | instskip(SKIP_1) | instid1(VALU_DEP_4)
	v_fmac_f32_e32 v26, v47, v25
	v_fma_f32 v38, v10, 2.0, -v35
	v_fma_f32 v3, v3, 2.0, -v13
	v_dual_add_f32 v13, v12, v13 :: v_dual_fmac_f32 v24, v43, v23
	v_fma_f32 v23, v46, v25, -v82
	v_fma_f32 v25, v60, v50, -v83
	v_sub_f32_e32 v26, v18, v26
	s_delay_alu instid0(VALU_DEP_3) | instskip(NEXT) | instid1(VALU_DEP_3)
	v_dual_sub_f32 v24, v16, v24 :: v_dual_sub_f32 v23, v15, v23
	v_sub_f32_e32 v25, v17, v25
	s_delay_alu instid0(VALU_DEP_2) | instskip(NEXT) | instid1(VALU_DEP_2)
	v_fma_f32 v16, v16, 2.0, -v24
	v_fma_f32 v17, v17, 2.0, -v25
	v_add_f32_e32 v25, v24, v25
	v_fma_f32 v34, v4, 2.0, -v12
	v_fma_f32 v4, v8, 2.0, -v28
	;; [unrolled: 1-line block ×6, first 2 shown]
	v_dual_sub_f32 v26, v19, v26 :: v_dual_add_f32 v23, v22, v23
	v_sub_f32_e32 v27, v21, v29
	v_dual_sub_f32 v41, v36, v15 :: v_dual_sub_f32 v14, v6, v14
	s_delay_alu instid0(VALU_DEP_4) | instskip(NEXT) | instid1(VALU_DEP_3)
	v_dual_sub_f32 v40, v28, v8 :: v_dual_sub_f32 v9, v18, v17
	v_fmamk_f32 v89, v27, 0x3f3504f3, v26
	v_fma_f32 v42, v19, 2.0, -v26
	s_delay_alu instid0(VALU_DEP_4) | instskip(SKIP_4) | instid1(VALU_DEP_4)
	v_fma_f32 v6, v6, 2.0, -v14
	v_dual_sub_f32 v14, v7, v14 :: v_dual_sub_f32 v15, v16, v20
	v_fma_f32 v17, v21, 2.0, -v27
	v_fma_f32 v28, v28, 2.0, -v40
	v_fma_f32 v18, v18, 2.0, -v9
	v_fma_f32 v37, v7, 2.0, -v14
	v_sub_f32_e32 v10, v5, v3
	v_fma_f32 v16, v16, 2.0, -v15
	v_fmamk_f32 v87, v17, 0xbf3504f3, v42
	v_fma_f32 v12, v12, 2.0, -v13
	v_sub_f32_e32 v93, v40, v15
	v_sub_f32_e32 v15, v28, v18
	v_fma_f32 v20, v5, 2.0, -v10
	v_fmamk_f32 v5, v39, 0xbf3504f3, v37
	v_dual_sub_f32 v29, v30, v32 :: v_dual_sub_f32 v32, v31, v6
	v_sub_f32_e32 v7, v34, v4
	v_fma_f32 v19, v24, 2.0, -v25
	s_delay_alu instid0(VALU_DEP_4)
	v_fmac_f32_e32 v5, 0xbf3504f3, v12
	v_fma_f32 v43, v22, 2.0, -v23
	v_dual_fmamk_f32 v3, v11, 0x3f3504f3, v14 :: v_dual_fmamk_f32 v4, v13, 0x3f3504f3, v35
	v_fmamk_f32 v90, v25, 0x3f3504f3, v23
	v_fma_f32 v21, v30, 2.0, -v29
	v_fma_f32 v22, v31, 2.0, -v32
	;; [unrolled: 1-line block ×3, first 2 shown]
	v_fmamk_f32 v6, v12, 0xbf3504f3, v38
	v_fma_f32 v30, v36, 2.0, -v41
	v_dual_fmamk_f32 v88, v19, 0xbf3504f3, v43 :: v_dual_sub_f32 v7, v29, v7
	v_dual_add_f32 v8, v32, v10 :: v_dual_fmac_f32 v3, 0xbf3504f3, v13
	v_fmac_f32_e32 v4, 0x3f3504f3, v11
	v_add_f32_e32 v94, v41, v9
	v_dual_fmac_f32 v90, 0x3f3504f3, v27 :: v_dual_sub_f32 v9, v21, v20
	v_sub_f32_e32 v10, v22, v24
	v_fmac_f32_e32 v6, 0x3f3504f3, v39
	v_dual_fmac_f32 v89, 0xbf3504f3, v25 :: v_dual_sub_f32 v16, v30, v16
	v_fmac_f32_e32 v87, 0xbf3504f3, v19
	v_fmac_f32_e32 v88, 0x3f3504f3, v17
	v_fma_f32 v11, v29, 2.0, -v7
	v_fma_f32 v12, v32, 2.0, -v8
	;; [unrolled: 1-line block ×16, first 2 shown]
	ds_store_2addr_b64 v66, v[7:8], v[3:4] offset0:100 offset1:138
	ds_store_2addr_b64 v64, v[11:12], v[13:14] offset0:76 offset1:114
	;; [unrolled: 1-line block ×3, first 2 shown]
	ds_store_2addr_b64 v64, v[21:22], v[23:24] offset1:38
	ds_store_2addr_b64 v65, v[25:26], v[27:28] offset1:38
	ds_store_2addr_b64 v65, v[17:18], v[19:20] offset0:76 offset1:114
	ds_store_2addr_b64 v65, v[15:16], v[87:88] offset0:152 offset1:190
	;; [unrolled: 1-line block ×3, first 2 shown]
	global_wb scope:SCOPE_SE
	s_wait_dscnt 0x0
	s_barrier_signal -1
	s_barrier_wait -1
	global_inv scope:SCOPE_SE
	ds_load_b64 v[113:114], v1
	ds_load_b64 v[117:118], v1 offset:2432
	ds_load_b64 v[121:122], v1 offset:4864
	ds_load_b64 v[125:126], v1 offset:7296
	ds_load_b64 v[129:130], v1 offset:9728
	ds_load_b64 v[135:136], v1 offset:12160
	ds_load_b64 v[137:138], v1 offset:14592
	ds_load_b64 v[133:134], v1 offset:17024
	ds_load_b64 v[131:132], v1 offset:19456
	ds_load_b64 v[127:128], v1 offset:21888
	ds_load_b64 v[123:124], v1 offset:24320
	ds_load_b64 v[119:120], v1 offset:26752
	ds_load_b64 v[115:116], v1 offset:29184
	v_cmpx_gt_u32_e32 57, v0
	s_cbranch_execz .LBB0_40
; %bb.39:
	ds_load_2addr_b32 v[87:88], v2 offset1:1
	ds_load_b64 v[93:94], v1 offset:4408
	ds_load_b64 v[89:90], v1 offset:6840
	;; [unrolled: 1-line block ×12, first 2 shown]
.LBB0_40:
	s_wait_alu 0xfffe
	s_or_b32 exec_lo, exec_lo, s7
	v_and_b32_e32 v25, 15, v139
	s_load_b64 s[0:1], s[0:1], 0x8
	s_delay_alu instid0(VALU_DEP_1)
	v_or_b32_e32 v2, 16, v25
	v_mul_lo_u32 v3, v86, v25
	v_mul_u32_u24_e32 v1, 12, v25
	v_or_b32_e32 v4, 32, v25
	v_or_b32_e32 v5, 48, v25
	v_mul_lo_u32 v2, v86, v2
	v_or_b32_e32 v26, 64, v25
	v_lshlrev_b32_e32 v6, 3, v1
	v_mul_lo_u32 v27, v86, v4
	v_and_b32_e32 v1, 0xff, v3
	v_lshrrev_b32_e32 v3, 5, v3
	v_mul_lo_u32 v28, v86, v5
	s_clause 0x1
	global_load_b128 v[9:12], v6, s[10:11] offset:160
	global_load_b128 v[13:16], v6, s[10:11] offset:144
	v_and_b32_e32 v4, 0xff, v2
	v_lshrrev_b32_e32 v2, 5, v2
	v_lshlrev_b32_e32 v29, 3, v1
	v_and_b32_e32 v30, 0x7f8, v3
	s_clause 0x1
	global_load_b128 v[17:20], v6, s[10:11] offset:128
	global_load_b128 v[21:24], v6, s[10:11] offset:112
	v_lshlrev_b32_e32 v31, 3, v4
	v_and_b32_e32 v32, 0x7f8, v2
	s_clause 0x1
	global_load_b128 v[1:4], v6, s[10:11] offset:192
	global_load_b128 v[5:8], v6, s[10:11] offset:176
	s_wait_kmcnt 0x0
	s_clause 0x3
	global_load_b64 v[82:83], v29, s[0:1]
	global_load_b64 v[84:85], v30, s[0:1] offset:2048
	global_load_b64 v[62:63], v31, s[0:1]
	global_load_b64 v[64:65], v32, s[0:1] offset:2048
	v_or_b32_e32 v31, 0x50, v25
	v_and_b32_e32 v29, 0xff, v27
	v_lshrrev_b32_e32 v27, 5, v27
	v_and_b32_e32 v30, 0xff, v28
	v_lshrrev_b32_e32 v28, 5, v28
	v_mul_lo_u32 v31, v86, v31
	v_mul_lo_u32 v26, v86, v26
	v_lshlrev_b32_e32 v29, 3, v29
	v_and_b32_e32 v27, 0x7f8, v27
	v_lshlrev_b32_e32 v30, 3, v30
	v_and_b32_e32 v28, 0x7f8, v28
	s_clause 0x3
	global_load_b64 v[72:73], v29, s[0:1]
	global_load_b64 v[76:77], v27, s[0:1] offset:2048
	global_load_b64 v[48:49], v30, s[0:1]
	global_load_b64 v[52:53], v28, s[0:1] offset:2048
	v_and_b32_e32 v28, 0xff, v31
	v_or_b32_e32 v29, 0x60, v25
	v_lshrrev_b32_e32 v30, 5, v31
	v_or_b32_e32 v31, 0x70, v25
	v_and_b32_e32 v32, 0xff, v26
	v_lshrrev_b32_e32 v26, 5, v26
	v_mul_lo_u32 v29, v86, v29
	v_lshlrev_b32_e32 v28, 3, v28
	v_mul_lo_u32 v31, v86, v31
	v_lshlrev_b32_e32 v27, 3, v32
	v_and_b32_e32 v26, 0x7f8, v26
	v_and_b32_e32 v30, 0x7f8, v30
	s_clause 0x3
	global_load_b64 v[78:79], v27, s[0:1]
	global_load_b64 v[80:81], v26, s[0:1] offset:2048
	global_load_b64 v[54:55], v28, s[0:1]
	global_load_b64 v[56:57], v30, s[0:1] offset:2048
	v_and_b32_e32 v26, 0xff, v29
	v_lshrrev_b32_e32 v27, 5, v29
	v_and_b32_e32 v29, 0xff, v31
	v_lshrrev_b32_e32 v30, 5, v31
	v_or_b32_e32 v31, 0x90, v25
	v_or_b32_e32 v32, 0x80, v25
	v_lshlrev_b32_e32 v26, 3, v26
	v_and_b32_e32 v27, 0x7f8, v27
	v_lshlrev_b32_e32 v29, 3, v29
	v_mul_lo_u32 v31, v86, v31
	v_mul_lo_u32 v28, v86, v32
	v_and_b32_e32 v30, 0x7f8, v30
	v_or_b32_e32 v34, 0xa0, v25
	s_clause 0x3
	global_load_b64 v[70:71], v26, s[0:1]
	global_load_b64 v[74:75], v27, s[0:1] offset:2048
	global_load_b64 v[46:47], v29, s[0:1]
	global_load_b64 v[50:51], v30, s[0:1] offset:2048
	v_and_b32_e32 v29, 0xff, v31
	v_lshrrev_b32_e32 v30, 5, v31
	v_or_b32_e32 v31, 0xb0, v25
	v_and_b32_e32 v32, 0xff, v28
	v_or_b32_e32 v25, 0xc0, v25
	v_lshrrev_b32_e32 v26, 5, v28
	v_mul_lo_u32 v28, v86, v34
	v_mul_lo_u32 v31, v86, v31
	v_lshlrev_b32_e32 v27, 3, v32
	v_mul_lo_u32 v25, v86, v25
	v_and_b32_e32 v26, 0x7f8, v26
	v_lshlrev_b32_e32 v29, 3, v29
	v_and_b32_e32 v30, 0x7f8, v30
	s_clause 0x3
	global_load_b64 v[66:67], v27, s[0:1]
	global_load_b64 v[68:69], v26, s[0:1] offset:2048
	global_load_b64 v[42:43], v29, s[0:1]
	global_load_b64 v[44:45], v30, s[0:1] offset:2048
	v_and_b32_e32 v32, 0xff, v28
	v_lshrrev_b32_e32 v27, 5, v28
	v_and_b32_e32 v28, 0xff, v31
	v_lshrrev_b32_e32 v29, 5, v31
	v_and_b32_e32 v30, 0xff, v25
	v_lshlrev_b32_e32 v26, 3, v32
	v_lshrrev_b32_e32 v25, 5, v25
	v_and_b32_e32 v27, 0x7f8, v27
	v_lshlrev_b32_e32 v28, 3, v28
	v_and_b32_e32 v29, 0x7f8, v29
	v_lshlrev_b32_e32 v30, 3, v30
	v_and_b32_e32 v25, 0x7f8, v25
	s_clause 0x5
	global_load_b64 v[58:59], v26, s[0:1]
	global_load_b64 v[60:61], v27, s[0:1] offset:2048
	global_load_b64 v[38:39], v28, s[0:1]
	global_load_b64 v[40:41], v29, s[0:1] offset:2048
	;; [unrolled: 2-line block ×3, first 2 shown]
	s_and_saveexec_b32 s2, s3
	s_cbranch_execz .LBB0_42
; %bb.41:
	v_mul_u32_u24_e32 v25, 12, v140
	v_or_b32_e32 v176, 16, v140
	s_delay_alu instid0(VALU_DEP_2)
	v_lshlrev_b32_e32 v141, 3, v25
	s_clause 0x1
	global_load_b128 v[29:32], v141, s[10:11] offset:144
	global_load_b128 v[25:28], v141, s[10:11] offset:160
	s_wait_loadcnt_dscnt 0x106
	v_mul_f32_e32 v142, v32, v137
	v_dual_mul_f32 v143, v32, v138 :: v_dual_mul_f32 v32, v30, v135
	v_mul_f32_e32 v30, v30, v136
	s_delay_alu instid0(VALU_DEP_3) | instskip(NEXT) | instid1(VALU_DEP_3)
	v_fmac_f32_e32 v142, v31, v138
	v_fma_f32 v31, v31, v137, -v143
	s_wait_loadcnt_dscnt 0x5
	v_mul_f32_e32 v137, v26, v133
	global_load_b128 v[143:146], v141, s[10:11] offset:128
	v_fmac_f32_e32 v32, v29, v136
	v_mul_f32_e32 v26, v26, v134
	s_wait_dscnt 0x4
	v_mul_f32_e32 v136, v28, v131
	v_mul_f32_e32 v28, v28, v132
	v_fma_f32 v135, v29, v135, -v30
	v_fmac_f32_e32 v137, v25, v134
	v_fma_f32 v134, v25, v133, -v26
	v_fmac_f32_e32 v136, v27, v132
	v_fma_f32 v133, v27, v131, -v28
	global_load_b128 v[25:28], v141, s[10:11] offset:112
	s_wait_loadcnt 0x1
	v_mul_f32_e32 v132, v146, v129
	v_mul_f32_e32 v29, v146, v130
	;; [unrolled: 1-line block ×4, first 2 shown]
	s_delay_alu instid0(VALU_DEP_4) | instskip(NEXT) | instid1(VALU_DEP_4)
	v_fmac_f32_e32 v132, v145, v130
	v_fma_f32 v129, v145, v129, -v29
	s_delay_alu instid0(VALU_DEP_4) | instskip(NEXT) | instid1(VALU_DEP_4)
	v_fmac_f32_e32 v131, v143, v126
	v_fma_f32 v125, v143, v125, -v30
	s_clause 0x1
	global_load_b128 v[143:146], v141, s[10:11] offset:176
	global_load_b128 v[147:150], v141, s[10:11] offset:192
	s_wait_loadcnt_dscnt 0x103
	v_mul_f32_e32 v126, v127, v144
	v_mul_f32_e32 v29, v128, v144
	s_delay_alu instid0(VALU_DEP_2) | instskip(NEXT) | instid1(VALU_DEP_2)
	v_fmac_f32_e32 v126, v128, v143
	v_fma_f32 v128, v127, v143, -v29
	s_wait_dscnt 0x2
	v_mul_f32_e32 v29, v124, v146
	v_mul_f32_e32 v127, v123, v146
	s_delay_alu instid0(VALU_DEP_2) | instskip(SKIP_4) | instid1(VALU_DEP_3)
	v_fma_f32 v130, v123, v145, -v29
	v_mul_lo_u32 v29, v86, v140
	v_mul_f32_e32 v123, v28, v121
	v_mul_f32_e32 v28, v28, v122
	v_fmac_f32_e32 v127, v124, v145
	v_fmac_f32_e32 v123, v27, v122
	s_delay_alu instid0(VALU_DEP_3)
	v_fma_f32 v121, v27, v121, -v28
	v_and_b32_e32 v30, 0xff, v29
	v_lshrrev_b32_e32 v29, 5, v29
	v_mul_f32_e32 v124, v26, v117
	v_mul_f32_e32 v26, v26, v118
	s_wait_loadcnt_dscnt 0x1
	v_dual_mul_f32 v122, v119, v148 :: v_dual_lshlrev_b32 v27, 3, v30
	v_and_b32_e32 v28, 0x7f8, v29
	v_fmac_f32_e32 v124, v25, v118
	v_fma_f32 v117, v25, v117, -v26
	s_clause 0x1
	global_load_b64 v[25:26], v27, s[0:1]
	global_load_b64 v[27:28], v28, s[0:1] offset:2048
	v_or_b32_e32 v29, 0xc0, v140
	v_mul_f32_e32 v30, v120, v148
	v_fmac_f32_e32 v122, v120, v147
	s_wait_dscnt 0x0
	v_mul_f32_e32 v120, v116, v150
	v_mul_f32_e32 v118, v115, v150
	v_mul_lo_u32 v138, v86, v29
	v_fma_f32 v119, v119, v147, -v30
	v_or_b32_e32 v30, 0xb0, v140
	v_fma_f32 v115, v115, v149, -v120
	v_fmac_f32_e32 v118, v116, v149
	s_delay_alu instid0(VALU_DEP_3) | instskip(SKIP_2) | instid1(VALU_DEP_2)
	v_mul_lo_u32 v116, v86, v30
	v_and_b32_e32 v120, 0xff, v138
	v_lshrrev_b32_e32 v138, 5, v138
	v_lshlrev_b32_e32 v120, 3, v120
	s_delay_alu instid0(VALU_DEP_2) | instskip(SKIP_3) | instid1(VALU_DEP_2)
	v_and_b32_e32 v138, 0x7f8, v138
	s_wait_loadcnt 0x0
	v_mul_f32_e32 v156, v25, v28
	v_mul_f32_e32 v28, v26, v28
	v_fmac_f32_e32 v156, v27, v26
	s_delay_alu instid0(VALU_DEP_2)
	v_fma_f32 v157, v25, v27, -v28
	s_clause 0x1
	global_load_b64 v[25:26], v120, s[0:1]
	global_load_b64 v[27:28], v138, s[0:1] offset:2048
	v_and_b32_e32 v120, 0xff, v116
	v_lshrrev_b32_e32 v116, 5, v116
	s_delay_alu instid0(VALU_DEP_2) | instskip(NEXT) | instid1(VALU_DEP_2)
	v_lshlrev_b32_e32 v120, 3, v120
	v_and_b32_e32 v116, 0x7f8, v116
	s_clause 0x1
	global_load_b64 v[143:144], v120, s[0:1]
	global_load_b64 v[145:146], v116, s[0:1] offset:2048
	s_wait_loadcnt 0x2
	v_mul_f32_e32 v116, v26, v28
	v_mul_f32_e32 v159, v25, v28
	v_or_b32_e32 v28, 0xa0, v140
	s_delay_alu instid0(VALU_DEP_3) | instskip(SKIP_1) | instid1(VALU_DEP_4)
	v_fma_f32 v158, v25, v27, -v116
	v_or_b32_e32 v116, 0x90, v140
	v_fmac_f32_e32 v159, v26, v27
	s_wait_loadcnt 0x0
	v_mul_f32_e32 v25, v144, v146
	s_delay_alu instid0(VALU_DEP_3) | instskip(SKIP_1) | instid1(VALU_DEP_3)
	v_mul_lo_u32 v26, v86, v116
	v_mul_f32_e32 v160, v143, v146
	v_fma_f32 v161, v143, v145, -v25
	v_mul_lo_u32 v25, v86, v28
	s_delay_alu instid0(VALU_DEP_3) | instskip(SKIP_2) | instid1(VALU_DEP_4)
	v_fmac_f32_e32 v160, v144, v145
	v_and_b32_e32 v120, 0xff, v26
	v_lshrrev_b32_e32 v26, 5, v26
	v_and_b32_e32 v27, 0xff, v25
	v_lshrrev_b32_e32 v25, 5, v25
	s_delay_alu instid0(VALU_DEP_4) | instskip(NEXT) | instid1(VALU_DEP_4)
	v_lshlrev_b32_e32 v120, 3, v120
	v_and_b32_e32 v141, 0x7f8, v26
	s_delay_alu instid0(VALU_DEP_4) | instskip(NEXT) | instid1(VALU_DEP_4)
	v_lshlrev_b32_e32 v27, 3, v27
	v_and_b32_e32 v138, 0x7f8, v25
	s_clause 0x3
	global_load_b64 v[25:26], v27, s[0:1]
	global_load_b64 v[143:144], v138, s[0:1] offset:2048
	global_load_b64 v[145:146], v120, s[0:1]
	global_load_b64 v[147:148], v141, s[0:1] offset:2048
	v_or_b32_e32 v120, 0x80, v140
	v_or_b32_e32 v138, 0x70, v140
	s_wait_loadcnt 0x2
	v_mul_f32_e32 v27, v26, v144
	v_mul_f32_e32 v163, v25, v144
	s_wait_loadcnt 0x0
	v_mul_f32_e32 v165, v145, v148
	s_delay_alu instid0(VALU_DEP_3) | instskip(SKIP_4) | instid1(VALU_DEP_4)
	v_fma_f32 v162, v25, v143, -v27
	v_mul_f32_e32 v25, v146, v148
	v_mul_lo_u32 v27, v86, v138
	v_fmac_f32_e32 v163, v26, v143
	v_dual_fmac_f32 v165, v146, v147 :: v_dual_add_f32 v178, v124, v118
	v_fma_f32 v164, v145, v147, -v25
	v_mul_lo_u32 v25, v86, v120
	v_sub_f32_e32 v179, v124, v118
	v_and_b32_e32 v141, 0xff, v27
	v_lshrrev_b32_e32 v27, 5, v27
	s_delay_alu instid0(VALU_DEP_3)
	v_mul_f32_e32 v206, 0xbf29c268, v179
	v_mul_f32_e32 v186, 0xbf7e222b, v179
	v_and_b32_e32 v26, 0xff, v25
	v_lshrrev_b32_e32 v25, 5, v25
	v_lshlrev_b32_e32 v141, 3, v141
	v_and_b32_e32 v27, 0x7f8, v27
	v_mul_f32_e32 v196, 0xbf6f5d39, v179
	v_lshlrev_b32_e32 v26, 3, v26
	v_and_b32_e32 v143, 0x7f8, v25
	s_clause 0x3
	global_load_b64 v[25:26], v26, s[0:1]
	global_load_b64 v[143:144], v143, s[0:1] offset:2048
	global_load_b64 v[145:146], v141, s[0:1]
	global_load_b64 v[147:148], v27, s[0:1] offset:2048
	v_or_b32_e32 v141, 0x60, v140
	s_wait_loadcnt 0x2
	v_mul_f32_e32 v27, v26, v144
	v_mul_f32_e32 v167, v25, v144
	s_wait_loadcnt 0x0
	v_mul_f32_e32 v169, v145, v148
	s_delay_alu instid0(VALU_DEP_3) | instskip(SKIP_4) | instid1(VALU_DEP_4)
	v_fma_f32 v166, v25, v143, -v27
	v_mul_f32_e32 v25, v146, v148
	v_fmac_f32_e32 v167, v26, v143
	v_or_b32_e32 v143, 0x50, v140
	v_fmac_f32_e32 v169, v146, v147
	v_fma_f32 v168, v145, v147, -v25
	v_mul_lo_u32 v25, v86, v141
	s_delay_alu instid0(VALU_DEP_4) | instskip(NEXT) | instid1(VALU_DEP_2)
	v_mul_lo_u32 v27, v86, v143
	v_and_b32_e32 v26, 0xff, v25
	v_lshrrev_b32_e32 v25, 5, v25
	s_delay_alu instid0(VALU_DEP_3) | instskip(SKIP_1) | instid1(VALU_DEP_4)
	v_and_b32_e32 v144, 0xff, v27
	v_lshrrev_b32_e32 v27, 5, v27
	v_lshlrev_b32_e32 v26, 3, v26
	s_delay_alu instid0(VALU_DEP_4) | instskip(NEXT) | instid1(VALU_DEP_4)
	v_and_b32_e32 v145, 0x7f8, v25
	v_lshlrev_b32_e32 v146, 3, v144
	s_delay_alu instid0(VALU_DEP_4)
	v_and_b32_e32 v27, 0x7f8, v27
	s_clause 0x3
	global_load_b64 v[25:26], v26, s[0:1]
	global_load_b64 v[144:145], v145, s[0:1] offset:2048
	global_load_b64 v[146:147], v146, s[0:1]
	global_load_b64 v[148:149], v27, s[0:1] offset:2048
	s_wait_loadcnt 0x2
	v_mul_f32_e32 v27, v26, v145
	v_mul_f32_e32 v171, v25, v145
	v_or_b32_e32 v145, 48, v140
	s_wait_loadcnt 0x0
	v_mul_f32_e32 v173, v146, v149
	v_fma_f32 v170, v25, v144, -v27
	v_fmac_f32_e32 v171, v26, v144
	v_mul_f32_e32 v25, v147, v149
	v_or_b32_e32 v144, 64, v140
	v_mul_lo_u32 v27, v86, v145
	v_fmac_f32_e32 v173, v147, v148
	s_delay_alu instid0(VALU_DEP_4) | instskip(NEXT) | instid1(VALU_DEP_4)
	v_fma_f32 v172, v146, v148, -v25
	v_mul_lo_u32 v25, v86, v144
	s_delay_alu instid0(VALU_DEP_4) | instskip(SKIP_1) | instid1(VALU_DEP_3)
	v_and_b32_e32 v146, 0xff, v27
	v_lshrrev_b32_e32 v27, 5, v27
	v_and_b32_e32 v26, 0xff, v25
	v_lshrrev_b32_e32 v25, 5, v25
	s_delay_alu instid0(VALU_DEP_4) | instskip(NEXT) | instid1(VALU_DEP_4)
	v_lshlrev_b32_e32 v148, 3, v146
	v_and_b32_e32 v27, 0x7f8, v27
	s_delay_alu instid0(VALU_DEP_4) | instskip(NEXT) | instid1(VALU_DEP_4)
	v_lshlrev_b32_e32 v26, 3, v26
	v_and_b32_e32 v147, 0x7f8, v25
	s_clause 0x3
	global_load_b64 v[25:26], v26, s[0:1]
	global_load_b64 v[146:147], v147, s[0:1] offset:2048
	global_load_b64 v[148:149], v148, s[0:1]
	global_load_b64 v[150:151], v27, s[0:1] offset:2048
	s_wait_loadcnt 0x2
	v_mul_f32_e32 v174, v25, v147
	s_delay_alu instid0(VALU_DEP_1) | instskip(SKIP_2) | instid1(VALU_DEP_2)
	v_fmac_f32_e32 v174, v26, v146
	v_mul_f32_e32 v26, v26, v147
	v_or_b32_e32 v147, 32, v140
	v_fma_f32 v175, v25, v146, -v26
	s_wait_loadcnt 0x0
	v_mul_f32_e32 v25, v149, v151
	v_mul_lo_u32 v26, v86, v176
	s_delay_alu instid0(VALU_DEP_2) | instskip(SKIP_2) | instid1(VALU_DEP_4)
	v_fma_f32 v146, v148, v150, -v25
	v_mul_lo_u32 v25, v86, v147
	v_mul_f32_e32 v148, v148, v151
	v_and_b32_e32 v86, 0xff, v26
	v_lshrrev_b32_e32 v26, 5, v26
	s_delay_alu instid0(VALU_DEP_3) | instskip(SKIP_1) | instid1(VALU_DEP_4)
	v_dual_fmac_f32 v148, v149, v150 :: v_dual_and_b32 v27, 0xff, v25
	v_lshrrev_b32_e32 v25, 5, v25
	v_lshlrev_b32_e32 v86, 3, v86
	s_delay_alu instid0(VALU_DEP_4) | instskip(NEXT) | instid1(VALU_DEP_4)
	v_and_b32_e32 v154, 0x7f8, v26
	v_lshlrev_b32_e32 v27, 3, v27
	s_delay_alu instid0(VALU_DEP_4)
	v_and_b32_e32 v149, 0x7f8, v25
	s_clause 0x3
	global_load_b64 v[25:26], v27, s[0:1]
	global_load_b64 v[150:151], v149, s[0:1] offset:2048
	global_load_b64 v[152:153], v86, s[0:1]
	global_load_b64 v[154:155], v154, s[0:1] offset:2048
	v_add_nc_u32_e32 v27, s6, v33
	s_wait_loadcnt 0x2
	v_mul_f32_e32 v149, v25, v151
	s_wait_loadcnt 0x0
	v_mul_f32_e32 v177, v152, v155
	s_delay_alu instid0(VALU_DEP_2) | instskip(NEXT) | instid1(VALU_DEP_2)
	v_fmac_f32_e32 v149, v26, v150
	v_dual_mul_f32 v26, v26, v151 :: v_dual_fmac_f32 v177, v153, v154
	s_delay_alu instid0(VALU_DEP_1) | instskip(SKIP_2) | instid1(VALU_DEP_2)
	v_fma_f32 v86, v25, v150, -v26
	v_mul_f32_e32 v25, v153, v155
	v_sub_f32_e32 v155, v125, v130
	v_fma_f32 v154, v152, v154, -v25
	v_mad_co_u64_u32 v[25:26], null, s8, v140, v[27:28]
	v_mov_b32_e32 v26, 0
	v_add_f32_e32 v140, v117, v113
	s_delay_alu instid0(VALU_DEP_2) | instskip(SKIP_1) | instid1(VALU_DEP_1)
	v_lshlrev_b64_e32 v[150:151], 3, v[25:26]
	v_add_f32_e32 v25, v124, v114
	v_add_f32_e32 v25, v25, v123
	s_delay_alu instid0(VALU_DEP_3) | instskip(NEXT) | instid1(VALU_DEP_1)
	v_add_co_u32 v150, s0, s4, v150
	v_add_co_ci_u32_e64 v151, s0, s5, v151, s0
	s_delay_alu instid0(VALU_DEP_3) | instskip(NEXT) | instid1(VALU_DEP_1)
	v_add_f32_e32 v25, v25, v131
	v_add_f32_e32 v25, v25, v132
	s_delay_alu instid0(VALU_DEP_1) | instskip(NEXT) | instid1(VALU_DEP_1)
	v_dual_add_f32 v25, v25, v32 :: v_dual_add_f32 v140, v140, v121
	v_add_f32_e32 v25, v25, v142
	s_delay_alu instid0(VALU_DEP_1) | instskip(NEXT) | instid1(VALU_DEP_1)
	v_add_f32_e32 v25, v25, v137
	v_dual_add_f32 v140, v140, v125 :: v_dual_add_f32 v25, v25, v136
	s_delay_alu instid0(VALU_DEP_1) | instskip(NEXT) | instid1(VALU_DEP_1)
	v_dual_add_f32 v140, v140, v129 :: v_dual_add_f32 v25, v25, v126
	v_add_f32_e32 v140, v140, v135
	s_delay_alu instid0(VALU_DEP_2) | instskip(NEXT) | instid1(VALU_DEP_1)
	v_add_f32_e32 v25, v25, v127
	v_dual_add_f32 v140, v140, v31 :: v_dual_add_f32 v25, v25, v122
	s_delay_alu instid0(VALU_DEP_1) | instskip(NEXT) | instid1(VALU_DEP_2)
	v_add_f32_e32 v25, v25, v118
	v_add_f32_e32 v140, v140, v134
	s_delay_alu instid0(VALU_DEP_1) | instskip(NEXT) | instid1(VALU_DEP_1)
	v_add_f32_e32 v140, v140, v133
	v_add_f32_e32 v140, v140, v128
	s_delay_alu instid0(VALU_DEP_1) | instskip(NEXT) | instid1(VALU_DEP_1)
	v_add_f32_e32 v140, v140, v130
	v_add_f32_e32 v140, v140, v119
	s_delay_alu instid0(VALU_DEP_1) | instskip(SKIP_1) | instid1(VALU_DEP_2)
	v_add_f32_e32 v140, v140, v115
	v_mul_f32_e32 v152, v25, v156
	v_mul_f32_e32 v153, v140, v156
	s_delay_alu instid0(VALU_DEP_2) | instskip(NEXT) | instid1(VALU_DEP_2)
	v_fma_f32 v152, v140, v157, -v152
	v_dual_add_f32 v140, v31, v134 :: v_dual_fmac_f32 v153, v25, v157
	v_dual_sub_f32 v25, v31, v134 :: v_dual_add_f32 v134, v142, v137
	v_sub_f32_e32 v137, v142, v137
	v_sub_f32_e32 v142, v135, v133
	global_store_b64 v[150:151], v[152:153], off
	v_add_f32_e32 v153, v129, v128
	v_mad_co_u64_u32 v[150:151], null, s8, v176, v[27:28]
	v_add_f32_e32 v135, v135, v133
	v_add_f32_e32 v133, v32, v136
	v_sub_f32_e32 v136, v32, v136
	v_sub_f32_e32 v152, v129, v128
	v_dual_add_f32 v128, v132, v126 :: v_dual_sub_f32 v157, v121, v119
	v_dual_sub_f32 v176, v117, v115 :: v_dual_mul_f32 v31, 0x3f62ad3f, v178
	v_add_f32_e32 v156, v125, v130
	v_add_f32_e32 v130, v131, v127
	v_sub_f32_e32 v127, v131, v127
	v_add_f32_e32 v131, v123, v122
	v_sub_f32_e32 v129, v132, v126
	v_dual_add_f32 v119, v121, v119 :: v_dual_sub_f32 v132, v123, v122
	v_mul_f32_e32 v121, 0xbeedf032, v179
	s_delay_alu instid0(VALU_DEP_4)
	v_mul_f32_e32 v32, 0x3f116cb1, v131
	v_add_f32_e32 v115, v117, v115
	v_fmamk_f32 v117, v176, 0x3eedf032, v31
	v_fmac_f32_e32 v31, 0xbeedf032, v176
	v_dual_mul_f32 v122, 0xbf52af12, v132 :: v_dual_mov_b32 v151, v26
	v_mul_f32_e32 v187, 0xbe750f2a, v132
	v_mul_f32_e32 v207, 0x3f7e222b, v132
	s_delay_alu instid0(VALU_DEP_4)
	v_dual_add_f32 v31, v31, v114 :: v_dual_fmamk_f32 v118, v157, 0x3f52af12, v32
	v_fmac_f32_e32 v32, 0xbf52af12, v157
	v_fma_f32 v123, 0x3f116cb1, v119, -v122
	v_lshlrev_b64_e32 v[150:151], 3, v[150:151]
	v_fmamk_f32 v208, v119, 0x3df6dbef, v207
	v_mul_f32_e32 v197, 0x3f29c268, v132
	v_add_f32_e32 v31, v32, v31
	v_fma_f32 v32, 0x3f62ad3f, v115, -v121
	v_mul_f32_e32 v190, 0x3f62ad3f, v128
	v_add_co_u32 v150, s0, s4, v150
	s_wait_alu 0xf1ff
	v_add_co_ci_u32_e64 v151, s0, s5, v151, s0
	v_dual_add_f32 v32, v32, v113 :: v_dual_mul_f32 v189, 0x3f6f5d39, v127
	v_mul_f32_e32 v188, 0xbeb58ec6, v130
	v_mul_f32_e32 v191, 0x3eedf032, v129
	;; [unrolled: 1-line block ×3, first 2 shown]
	s_delay_alu instid0(VALU_DEP_4)
	v_dual_add_f32 v32, v123, v32 :: v_dual_mul_f32 v123, 0x3df6dbef, v130
	v_mul_f32_e32 v192, 0x3f116cb1, v133
	v_mul_f32_e32 v195, 0xbf29c268, v137
	;; [unrolled: 1-line block ×4, first 2 shown]
	v_fmamk_f32 v124, v155, 0x3f7e222b, v123
	v_fmac_f32_e32 v123, 0xbf7e222b, v155
	v_mul_f32_e32 v203, 0x3e750f2a, v136
	v_mul_f32_e32 v205, 0x3f52af12, v137
	;; [unrolled: 1-line block ×3, first 2 shown]
	s_delay_alu instid0(VALU_DEP_4)
	v_dual_mul_f32 v194, 0xbf3f9e67, v134 :: v_dual_add_f32 v31, v123, v31
	v_mul_f32_e32 v123, 0xbf7e222b, v127
	v_mul_f32_e32 v200, 0x3df6dbef, v128
	;; [unrolled: 1-line block ×5, first 2 shown]
	v_fma_f32 v125, 0x3df6dbef, v156, -v123
	s_delay_alu instid0(VALU_DEP_1) | instskip(SKIP_1) | instid1(VALU_DEP_1)
	v_add_f32_e32 v32, v125, v32
	v_mul_f32_e32 v125, 0xbeb58ec6, v128
	v_fmamk_f32 v126, v152, 0x3f6f5d39, v125
	v_fmac_f32_e32 v125, 0xbf6f5d39, v152
	s_delay_alu instid0(VALU_DEP_1) | instskip(SKIP_2) | instid1(VALU_DEP_2)
	v_add_f32_e32 v31, v125, v31
	v_mul_f32_e32 v125, 0xbf6f5d39, v129
	v_mul_f32_e32 v184, 0xbe750f2a, v137
	v_fma_f32 v180, 0xbeb58ec6, v153, -v125
	s_delay_alu instid0(VALU_DEP_1) | instskip(SKIP_1) | instid1(VALU_DEP_1)
	v_add_f32_e32 v32, v180, v32
	v_mul_f32_e32 v180, 0xbf3f9e67, v133
	v_fmamk_f32 v181, v142, 0x3f29c268, v180
	v_fmac_f32_e32 v180, 0xbf29c268, v142
	s_delay_alu instid0(VALU_DEP_1) | instskip(NEXT) | instid1(VALU_DEP_1)
	v_dual_add_f32 v31, v180, v31 :: v_dual_mul_f32 v180, 0xbf29c268, v136
	v_fma_f32 v182, 0xbf3f9e67, v135, -v180
	s_delay_alu instid0(VALU_DEP_1) | instskip(SKIP_1) | instid1(VALU_DEP_1)
	v_add_f32_e32 v32, v182, v32
	v_mul_f32_e32 v182, 0xbf788fa5, v134
	v_fmamk_f32 v183, v25, 0x3e750f2a, v182
	v_fmac_f32_e32 v182, 0xbe750f2a, v25
	s_delay_alu instid0(VALU_DEP_1) | instskip(SKIP_1) | instid1(VALU_DEP_2)
	v_add_f32_e32 v182, v182, v31
	v_fma_f32 v31, 0xbf788fa5, v140, -v184
	v_mul_f32_e32 v185, v182, v177
	s_delay_alu instid0(VALU_DEP_2) | instskip(NEXT) | instid1(VALU_DEP_1)
	v_add_f32_e32 v31, v31, v32
	v_mul_f32_e32 v32, v31, v177
	s_delay_alu instid0(VALU_DEP_3) | instskip(SKIP_1) | instid1(VALU_DEP_3)
	v_fma_f32 v31, v31, v154, -v185
	v_mul_f32_e32 v185, 0x3eedf032, v137
	v_dual_mul_f32 v137, 0x3f7e222b, v137 :: v_dual_fmac_f32 v32, v182, v154
	v_mul_f32_e32 v154, 0xbf52af12, v179
	global_store_b64 v[150:151], v[31:32], off
	v_add_f32_e32 v31, v117, v114
	v_dual_fmamk_f32 v117, v119, 0x3f116cb1, v122 :: v_dual_mul_f32 v150, 0x3f116cb1, v178
	v_mul_f32_e32 v151, 0xbeb58ec6, v131
	s_delay_alu instid0(VALU_DEP_3) | instskip(NEXT) | instid1(VALU_DEP_1)
	v_add_f32_e32 v31, v118, v31
	v_dual_add_f32 v31, v124, v31 :: v_dual_fmamk_f32 v32, v115, 0x3f62ad3f, v121
	s_delay_alu instid0(VALU_DEP_1) | instskip(NEXT) | instid1(VALU_DEP_1)
	v_dual_add_f32 v31, v126, v31 :: v_dual_add_f32 v32, v32, v113
	v_add_f32_e32 v31, v181, v31
	s_delay_alu instid0(VALU_DEP_2) | instskip(NEXT) | instid1(VALU_DEP_1)
	v_dual_add_f32 v32, v117, v32 :: v_dual_fmamk_f32 v117, v156, 0x3df6dbef, v123
	v_dual_fmamk_f32 v123, v119, 0xbf788fa5, v187 :: v_dual_add_f32 v32, v117, v32
	v_fmamk_f32 v117, v153, 0xbeb58ec6, v125
	s_delay_alu instid0(VALU_DEP_1) | instskip(SKIP_1) | instid1(VALU_DEP_1)
	v_dual_fmamk_f32 v125, v119, 0xbf3f9e67, v197 :: v_dual_add_f32 v32, v117, v32
	v_fmamk_f32 v117, v135, 0xbf3f9e67, v180
	v_dual_add_f32 v32, v117, v32 :: v_dual_add_f32 v117, v183, v31
	v_fmamk_f32 v31, v140, 0xbf788fa5, v184
	v_mul_f32_e32 v184, 0x3f62ad3f, v134
	s_delay_alu instid0(VALU_DEP_2) | instskip(NEXT) | instid1(VALU_DEP_1)
	v_dual_mul_f32 v118, v117, v159 :: v_dual_add_f32 v31, v31, v32
	v_mul_f32_e32 v32, v31, v159
	s_delay_alu instid0(VALU_DEP_2) | instskip(SKIP_2) | instid1(VALU_DEP_4)
	v_fma_f32 v31, v31, v158, -v118
	v_fmamk_f32 v118, v157, 0x3f6f5d39, v151
	v_mul_f32_e32 v159, 0xbf788fa5, v130
	v_dual_fmac_f32 v151, 0xbf6f5d39, v157 :: v_dual_fmac_f32 v32, v117, v158
	v_fmamk_f32 v117, v176, 0x3f52af12, v150
	v_mul_f32_e32 v158, 0xbf6f5d39, v132
	v_mul_f32_e32 v132, 0x3eedf032, v132
	s_delay_alu instid0(VALU_DEP_3) | instskip(NEXT) | instid1(VALU_DEP_3)
	v_dual_fmac_f32 v150, 0xbf52af12, v176 :: v_dual_add_f32 v117, v117, v114
	v_fmamk_f32 v121, v119, 0xbeb58ec6, v158
	s_delay_alu instid0(VALU_DEP_2) | instskip(NEXT) | instid1(VALU_DEP_1)
	v_dual_add_f32 v117, v118, v117 :: v_dual_fmamk_f32 v118, v115, 0x3f116cb1, v154
	v_add_f32_e32 v118, v118, v113
	s_delay_alu instid0(VALU_DEP_1) | instskip(SKIP_1) | instid1(VALU_DEP_2)
	v_dual_add_f32 v118, v121, v118 :: v_dual_fmamk_f32 v121, v155, 0x3e750f2a, v159
	v_mul_f32_e32 v177, 0xbe750f2a, v127
	v_add_f32_e32 v117, v121, v117
	s_delay_alu instid0(VALU_DEP_2) | instskip(SKIP_1) | instid1(VALU_DEP_1)
	v_fmamk_f32 v121, v156, 0xbf788fa5, v177
	v_mul_f32_e32 v180, 0xbf3f9e67, v128
	v_dual_add_f32 v118, v121, v118 :: v_dual_fmamk_f32 v121, v152, 0xbf29c268, v180
	v_mul_f32_e32 v181, 0x3f29c268, v129
	s_delay_alu instid0(VALU_DEP_2) | instskip(NEXT) | instid1(VALU_DEP_2)
	v_add_f32_e32 v117, v121, v117
	v_fmamk_f32 v121, v153, 0xbf3f9e67, v181
	v_fmac_f32_e32 v180, 0x3f29c268, v152
	s_delay_alu instid0(VALU_DEP_2) | instskip(SKIP_1) | instid1(VALU_DEP_1)
	v_dual_add_f32 v118, v121, v118 :: v_dual_mul_f32 v183, 0x3f7e222b, v136
	v_mul_f32_e32 v182, 0x3df6dbef, v133
	v_fmamk_f32 v121, v142, 0xbf7e222b, v182
	s_delay_alu instid0(VALU_DEP_1) | instskip(NEXT) | instid1(VALU_DEP_4)
	v_add_f32_e32 v117, v121, v117
	v_fmamk_f32 v121, v135, 0x3df6dbef, v183
	v_fmac_f32_e32 v182, 0x3f7e222b, v142
	s_delay_alu instid0(VALU_DEP_2) | instskip(SKIP_2) | instid1(VALU_DEP_2)
	v_add_f32_e32 v118, v121, v118
	v_fmamk_f32 v121, v25, 0xbeedf032, v184
	v_fmac_f32_e32 v184, 0x3eedf032, v25
	v_add_f32_e32 v121, v121, v117
	s_delay_alu instid0(VALU_DEP_1) | instskip(NEXT) | instid1(VALU_DEP_1)
	v_dual_fmamk_f32 v117, v140, 0x3f62ad3f, v185 :: v_dual_mul_f32 v122, v121, v160
	v_add_f32_e32 v117, v117, v118
	s_delay_alu instid0(VALU_DEP_1) | instskip(SKIP_1) | instid1(VALU_DEP_4)
	v_dual_fmac_f32 v159, 0xbe750f2a, v155 :: v_dual_mul_f32 v118, v117, v160
	v_mul_f32_e32 v160, 0x3df6dbef, v178
	v_fma_f32 v117, v117, v161, -v122
	s_delay_alu instid0(VALU_DEP_3) | instskip(NEXT) | instid1(VALU_DEP_3)
	v_fmac_f32_e32 v118, v121, v161
	v_fmamk_f32 v121, v176, 0x3f7e222b, v160
	v_mul_f32_e32 v161, 0xbf788fa5, v131
	s_delay_alu instid0(VALU_DEP_2) | instskip(NEXT) | instid1(VALU_DEP_2)
	v_dual_fmac_f32 v160, 0xbf7e222b, v176 :: v_dual_add_f32 v121, v121, v114
	v_fmamk_f32 v122, v157, 0x3e750f2a, v161
	s_delay_alu instid0(VALU_DEP_1) | instskip(NEXT) | instid1(VALU_DEP_1)
	v_dual_add_f32 v121, v122, v121 :: v_dual_fmamk_f32 v122, v115, 0x3df6dbef, v186
	v_add_f32_e32 v122, v122, v113
	s_delay_alu instid0(VALU_DEP_1) | instskip(SKIP_1) | instid1(VALU_DEP_1)
	v_add_f32_e32 v122, v123, v122
	v_fmamk_f32 v123, v155, 0xbf6f5d39, v188
	v_add_f32_e32 v121, v123, v121
	v_fmamk_f32 v123, v156, 0xbeb58ec6, v189
	v_fmac_f32_e32 v188, 0x3f6f5d39, v155
	s_delay_alu instid0(VALU_DEP_2) | instskip(NEXT) | instid1(VALU_DEP_1)
	v_dual_add_f32 v122, v123, v122 :: v_dual_fmamk_f32 v123, v152, 0xbeedf032, v190
	v_dual_fmac_f32 v190, 0x3eedf032, v152 :: v_dual_add_f32 v121, v123, v121
	v_fmamk_f32 v123, v153, 0x3f62ad3f, v191
	s_delay_alu instid0(VALU_DEP_1) | instskip(NEXT) | instid1(VALU_DEP_1)
	v_dual_add_f32 v122, v123, v122 :: v_dual_fmamk_f32 v123, v142, 0x3f52af12, v192
	v_add_f32_e32 v121, v123, v121
	v_fmamk_f32 v123, v135, 0x3f116cb1, v193
	v_fmac_f32_e32 v192, 0xbf52af12, v142
	s_delay_alu instid0(VALU_DEP_2) | instskip(SKIP_1) | instid1(VALU_DEP_2)
	v_dual_add_f32 v122, v123, v122 :: v_dual_fmamk_f32 v123, v25, 0x3f29c268, v194
	v_fmac_f32_e32 v194, 0xbf29c268, v25
	v_add_f32_e32 v123, v123, v121
	s_delay_alu instid0(VALU_DEP_1) | instskip(NEXT) | instid1(VALU_DEP_1)
	v_dual_fmamk_f32 v121, v140, 0xbf3f9e67, v195 :: v_dual_mul_f32 v124, v123, v163
	v_add_f32_e32 v121, v121, v122
	s_delay_alu instid0(VALU_DEP_1) | instskip(SKIP_1) | instid1(VALU_DEP_4)
	v_mul_f32_e32 v122, v121, v163
	v_mul_f32_e32 v163, 0xbf3f9e67, v131
	v_fma_f32 v121, v121, v162, -v124
	s_delay_alu instid0(VALU_DEP_2) | instskip(NEXT) | instid1(VALU_DEP_4)
	v_fmamk_f32 v124, v157, 0xbf29c268, v163
	v_fmac_f32_e32 v122, v123, v162
	v_mul_f32_e32 v162, 0xbeb58ec6, v178
	v_fmac_f32_e32 v161, 0xbe750f2a, v157
	s_delay_alu instid0(VALU_DEP_2) | instskip(NEXT) | instid1(VALU_DEP_1)
	v_fmamk_f32 v123, v176, 0x3f6f5d39, v162
	v_dual_fmac_f32 v162, 0xbf6f5d39, v176 :: v_dual_add_f32 v123, v123, v114
	s_delay_alu instid0(VALU_DEP_1) | instskip(NEXT) | instid1(VALU_DEP_1)
	v_dual_add_f32 v123, v124, v123 :: v_dual_fmamk_f32 v124, v115, 0xbeb58ec6, v196
	v_add_f32_e32 v124, v124, v113
	s_delay_alu instid0(VALU_DEP_1) | instskip(SKIP_1) | instid1(VALU_DEP_2)
	v_dual_add_f32 v124, v125, v124 :: v_dual_fmamk_f32 v125, v155, 0xbeedf032, v198
	v_fmac_f32_e32 v198, 0x3eedf032, v155
	v_add_f32_e32 v123, v125, v123
	v_fmamk_f32 v125, v156, 0x3f62ad3f, v199
	s_delay_alu instid0(VALU_DEP_1) | instskip(NEXT) | instid1(VALU_DEP_1)
	v_dual_add_f32 v124, v125, v124 :: v_dual_fmamk_f32 v125, v152, 0x3f7e222b, v200
	v_dual_fmac_f32 v200, 0xbf7e222b, v152 :: v_dual_add_f32 v123, v125, v123
	v_fmamk_f32 v125, v153, 0x3df6dbef, v201
	s_delay_alu instid0(VALU_DEP_1) | instskip(NEXT) | instid1(VALU_DEP_1)
	v_dual_add_f32 v124, v125, v124 :: v_dual_fmamk_f32 v125, v142, 0xbe750f2a, v202
	v_dual_fmac_f32 v202, 0x3e750f2a, v142 :: v_dual_add_f32 v123, v125, v123
	v_fmamk_f32 v125, v135, 0xbf788fa5, v203
	s_delay_alu instid0(VALU_DEP_1) | instskip(SKIP_1) | instid1(VALU_DEP_1)
	v_add_f32_e32 v124, v125, v124
	v_fmamk_f32 v125, v25, 0xbf52af12, v204
	v_dual_fmac_f32 v204, 0x3f52af12, v25 :: v_dual_add_f32 v125, v125, v123
	s_delay_alu instid0(VALU_DEP_1) | instskip(NEXT) | instid1(VALU_DEP_1)
	v_dual_fmamk_f32 v123, v140, 0x3f116cb1, v205 :: v_dual_mul_f32 v126, v125, v165
	v_add_f32_e32 v123, v123, v124
	s_delay_alu instid0(VALU_DEP_1) | instskip(NEXT) | instid1(VALU_DEP_3)
	v_mul_f32_e32 v124, v123, v165
	v_fma_f32 v123, v123, v164, -v126
	v_mul_f32_e32 v165, 0x3df6dbef, v131
	s_delay_alu instid0(VALU_DEP_3) | instskip(SKIP_1) | instid1(VALU_DEP_3)
	v_dual_mul_f32 v131, 0x3f62ad3f, v131 :: v_dual_fmac_f32 v124, v125, v164
	v_mul_f32_e32 v164, 0xbf3f9e67, v178
	v_fmamk_f32 v126, v157, 0xbf7e222b, v165
	s_delay_alu instid0(VALU_DEP_2) | instskip(NEXT) | instid1(VALU_DEP_1)
	v_fmamk_f32 v125, v176, 0x3f29c268, v164
	v_dual_fmac_f32 v164, 0xbf29c268, v176 :: v_dual_add_f32 v125, v125, v114
	s_delay_alu instid0(VALU_DEP_1) | instskip(SKIP_1) | instid1(VALU_DEP_2)
	v_dual_add_f32 v125, v126, v125 :: v_dual_fmamk_f32 v126, v115, 0xbf3f9e67, v206
	v_fmac_f32_e32 v163, 0x3f29c268, v157
	v_add_f32_e32 v126, v126, v113
	s_delay_alu instid0(VALU_DEP_1) | instskip(SKIP_2) | instid1(VALU_DEP_2)
	v_add_f32_e32 v126, v208, v126
	v_mul_f32_e32 v208, 0x3f116cb1, v130
	v_mul_f32_e32 v130, 0xbf3f9e67, v130
	v_fmamk_f32 v209, v155, 0x3f52af12, v208
	s_delay_alu instid0(VALU_DEP_1) | instskip(SKIP_1) | instid1(VALU_DEP_1)
	v_dual_fmac_f32 v208, 0xbf52af12, v155 :: v_dual_add_f32 v125, v209, v125
	v_mul_f32_e32 v209, 0xbf52af12, v127
	v_fmamk_f32 v210, v156, 0x3f116cb1, v209
	s_delay_alu instid0(VALU_DEP_1) | instskip(SKIP_1) | instid1(VALU_DEP_1)
	v_add_f32_e32 v126, v210, v126
	v_mul_f32_e32 v210, 0xbf788fa5, v128
	v_fmamk_f32 v211, v152, 0xbe750f2a, v210
	s_delay_alu instid0(VALU_DEP_1) | instskip(SKIP_2) | instid1(VALU_DEP_2)
	v_dual_fmac_f32 v210, 0x3e750f2a, v152 :: v_dual_add_f32 v125, v211, v125
	v_mul_f32_e32 v211, 0x3e750f2a, v129
	v_mul_f32_e32 v129, 0x3f52af12, v129
	v_fmamk_f32 v212, v153, 0xbf788fa5, v211
	s_delay_alu instid0(VALU_DEP_1) | instskip(SKIP_2) | instid1(VALU_DEP_2)
	v_add_f32_e32 v126, v212, v126
	v_mul_f32_e32 v212, 0x3f62ad3f, v133
	v_mul_f32_e32 v133, 0xbeb58ec6, v133
	v_fmamk_f32 v213, v142, 0xbeedf032, v212
	s_delay_alu instid0(VALU_DEP_1) | instskip(SKIP_2) | instid1(VALU_DEP_2)
	v_dual_fmac_f32 v212, 0x3eedf032, v142 :: v_dual_add_f32 v125, v213, v125
	v_mul_f32_e32 v213, 0x3eedf032, v136
	v_mul_f32_e32 v136, 0xbf6f5d39, v136
	v_fmamk_f32 v214, v135, 0x3f62ad3f, v213
	s_delay_alu instid0(VALU_DEP_1) | instskip(SKIP_3) | instid1(VALU_DEP_3)
	v_add_f32_e32 v126, v214, v126
	v_mul_f32_e32 v214, 0xbeb58ec6, v134
	v_mul_f32_e32 v134, 0x3df6dbef, v134
	v_fmac_f32_e32 v165, 0x3f7e222b, v157
	v_fmamk_f32 v215, v25, 0x3f6f5d39, v214
	v_fmac_f32_e32 v214, 0xbf6f5d39, v25
	s_delay_alu instid0(VALU_DEP_2) | instskip(SKIP_1) | instid1(VALU_DEP_2)
	v_add_f32_e32 v215, v215, v125
	v_fmamk_f32 v125, v140, 0xbeb58ec6, v216
	v_mul_f32_e32 v217, v215, v167
	s_delay_alu instid0(VALU_DEP_2) | instskip(NEXT) | instid1(VALU_DEP_1)
	v_add_f32_e32 v125, v125, v126
	v_mul_f32_e32 v126, v125, v167
	s_delay_alu instid0(VALU_DEP_3) | instskip(NEXT) | instid1(VALU_DEP_2)
	v_fma_f32 v125, v125, v166, -v217
	v_fmac_f32_e32 v126, v215, v166
	v_mul_f32_e32 v166, 0xbf788fa5, v178
	v_fmamk_f32 v178, v157, 0xbeedf032, v131
	v_fmac_f32_e32 v131, 0x3eedf032, v157
	v_fmamk_f32 v215, v119, 0x3f62ad3f, v132
	v_fma_f32 v132, 0x3f62ad3f, v119, -v132
	v_fmamk_f32 v167, v176, 0x3e750f2a, v166
	s_delay_alu instid0(VALU_DEP_1) | instskip(NEXT) | instid1(VALU_DEP_1)
	v_dual_fmac_f32 v166, 0xbe750f2a, v176 :: v_dual_add_f32 v167, v167, v114
	v_add_f32_e32 v166, v166, v114
	s_delay_alu instid0(VALU_DEP_2) | instskip(NEXT) | instid1(VALU_DEP_2)
	v_dual_add_f32 v167, v178, v167 :: v_dual_fmamk_f32 v178, v155, 0x3f29c268, v130
	v_dual_add_f32 v131, v131, v166 :: v_dual_fmac_f32 v130, 0xbf29c268, v155
	s_delay_alu instid0(VALU_DEP_2) | instskip(SKIP_1) | instid1(VALU_DEP_1)
	v_add_f32_e32 v167, v178, v167
	v_mul_f32_e32 v178, 0xbe750f2a, v179
	v_dual_add_f32 v130, v130, v131 :: v_dual_fmamk_f32 v179, v115, 0xbf788fa5, v178
	v_fma_f32 v166, 0xbf788fa5, v115, -v178
	s_delay_alu instid0(VALU_DEP_2) | instskip(NEXT) | instid1(VALU_DEP_1)
	v_add_f32_e32 v179, v179, v113
	v_dual_add_f32 v166, v166, v113 :: v_dual_add_f32 v179, v215, v179
	s_delay_alu instid0(VALU_DEP_1) | instskip(NEXT) | instid1(VALU_DEP_1)
	v_dual_mul_f32 v215, 0x3f116cb1, v128 :: v_dual_add_f32 v132, v132, v166
	v_fmamk_f32 v128, v152, 0xbf52af12, v215
	s_delay_alu instid0(VALU_DEP_1) | instskip(NEXT) | instid1(VALU_DEP_1)
	v_dual_fmac_f32 v215, 0x3f52af12, v152 :: v_dual_add_f32 v128, v128, v167
	v_dual_mul_f32 v167, 0xbf29c268, v127 :: v_dual_add_f32 v130, v215, v130
	s_delay_alu instid0(VALU_DEP_1) | instskip(SKIP_1) | instid1(VALU_DEP_2)
	v_fmamk_f32 v127, v156, 0xbf3f9e67, v167
	v_fma_f32 v131, 0xbf3f9e67, v156, -v167
	v_add_f32_e32 v127, v127, v179
	v_fmamk_f32 v179, v142, 0x3f6f5d39, v133
	s_delay_alu instid0(VALU_DEP_3) | instskip(SKIP_2) | instid1(VALU_DEP_4)
	v_add_f32_e32 v131, v131, v132
	v_fmac_f32_e32 v133, 0xbf6f5d39, v142
	v_mad_co_u64_u32 v[142:143], null, s8, v143, v[27:28]
	v_dual_add_f32 v128, v179, v128 :: v_dual_fmamk_f32 v179, v153, 0x3f116cb1, v129
	v_fma_f32 v129, 0x3f116cb1, v153, -v129
	s_delay_alu instid0(VALU_DEP_4)
	v_add_f32_e32 v130, v133, v130
	v_fma_f32 v133, 0x3f116cb1, v156, -v209
	v_mov_b32_e32 v143, v26
	v_add_f32_e32 v127, v179, v127
	v_fmamk_f32 v179, v135, 0xbeb58ec6, v136
	v_add_f32_e32 v129, v129, v131
	v_fma_f32 v131, 0xbeb58ec6, v135, -v136
	v_fma_f32 v136, 0xbf3f9e67, v119, -v197
	s_delay_alu instid0(VALU_DEP_4) | instskip(SKIP_4) | instid1(VALU_DEP_3)
	v_add_f32_e32 v127, v179, v127
	v_fmamk_f32 v179, v25, 0xbf7e222b, v134
	v_fmac_f32_e32 v134, 0x3f7e222b, v25
	v_add_f32_e32 v129, v131, v129
	v_fma_f32 v25, 0xbf3f9e67, v140, -v195
	v_add_f32_e32 v131, v134, v130
	v_fma_f32 v130, 0x3df6dbef, v140, -v137
	s_delay_alu instid0(VALU_DEP_1) | instskip(NEXT) | instid1(VALU_DEP_1)
	v_dual_mul_f32 v132, v131, v171 :: v_dual_add_f32 v129, v130, v129
	v_mul_f32_e32 v130, v129, v171
	s_delay_alu instid0(VALU_DEP_2) | instskip(SKIP_1) | instid1(VALU_DEP_3)
	v_fma_f32 v129, v129, v170, -v132
	v_fma_f32 v132, 0x3df6dbef, v119, -v207
	v_fmac_f32_e32 v130, v131, v170
	v_fma_f32 v131, 0xbf3f9e67, v115, -v206
	s_delay_alu instid0(VALU_DEP_1) | instskip(NEXT) | instid1(VALU_DEP_1)
	v_add_f32_e32 v131, v131, v113
	v_add_f32_e32 v131, v132, v131
	s_delay_alu instid0(VALU_DEP_1) | instskip(SKIP_1) | instid1(VALU_DEP_2)
	v_dual_add_f32 v131, v133, v131 :: v_dual_add_f32 v132, v164, v114
	v_fma_f32 v133, 0xbf788fa5, v153, -v211
	v_add_f32_e32 v132, v165, v132
	s_delay_alu instid0(VALU_DEP_2) | instskip(SKIP_1) | instid1(VALU_DEP_1)
	v_add_f32_e32 v131, v133, v131
	v_fma_f32 v133, 0x3f62ad3f, v135, -v213
	v_dual_add_f32 v132, v208, v132 :: v_dual_add_f32 v131, v133, v131
	s_delay_alu instid0(VALU_DEP_1) | instskip(NEXT) | instid1(VALU_DEP_1)
	v_add_f32_e32 v132, v210, v132
	v_add_f32_e32 v132, v212, v132
	s_delay_alu instid0(VALU_DEP_1) | instskip(SKIP_1) | instid1(VALU_DEP_1)
	v_add_f32_e32 v133, v214, v132
	v_fma_f32 v132, 0xbeb58ec6, v140, -v216
	v_dual_mul_f32 v134, v133, v173 :: v_dual_add_f32 v131, v132, v131
	s_delay_alu instid0(VALU_DEP_1) | instskip(NEXT) | instid1(VALU_DEP_2)
	v_mul_f32_e32 v132, v131, v173
	v_fma_f32 v131, v131, v172, -v134
	v_fma_f32 v134, 0xbeb58ec6, v115, -v196
	s_delay_alu instid0(VALU_DEP_3) | instskip(NEXT) | instid1(VALU_DEP_2)
	v_dual_fmac_f32 v132, v133, v172 :: v_dual_add_f32 v133, v162, v114
	v_add_f32_e32 v134, v134, v113
	s_delay_alu instid0(VALU_DEP_1) | instskip(SKIP_1) | instid1(VALU_DEP_1)
	v_dual_add_f32 v133, v163, v133 :: v_dual_add_f32 v134, v136, v134
	v_fma_f32 v136, 0x3f62ad3f, v156, -v199
	v_dual_add_f32 v133, v198, v133 :: v_dual_add_f32 v134, v136, v134
	v_fma_f32 v136, 0x3df6dbef, v153, -v201
	s_delay_alu instid0(VALU_DEP_2) | instskip(NEXT) | instid1(VALU_DEP_2)
	v_add_f32_e32 v133, v200, v133
	v_add_f32_e32 v134, v136, v134
	v_fma_f32 v136, 0xbf788fa5, v135, -v203
	s_delay_alu instid0(VALU_DEP_1) | instskip(SKIP_1) | instid1(VALU_DEP_2)
	v_dual_add_f32 v133, v202, v133 :: v_dual_add_f32 v134, v136, v134
	v_dual_add_f32 v179, v179, v128 :: v_dual_fmamk_f32 v128, v140, 0x3df6dbef, v137
	v_add_f32_e32 v136, v204, v133
	s_delay_alu instid0(VALU_DEP_2) | instskip(NEXT) | instid1(VALU_DEP_1)
	v_add_f32_e32 v127, v128, v127
	v_dual_mul_f32 v137, v136, v174 :: v_dual_mul_f32 v128, v127, v169
	s_delay_alu instid0(VALU_DEP_1) | instskip(SKIP_1) | instid1(VALU_DEP_1)
	v_fmac_f32_e32 v128, v179, v168
	v_fma_f32 v133, 0x3f116cb1, v140, -v205
	v_add_f32_e32 v133, v133, v134
	s_delay_alu instid0(VALU_DEP_1) | instskip(SKIP_3) | instid1(VALU_DEP_4)
	v_dual_mul_f32 v134, v133, v174 :: v_dual_mul_f32 v217, v179, v169
	v_fma_f32 v133, v133, v175, -v137
	v_add_f32_e32 v137, v160, v114
	v_add_f32_e32 v114, v150, v114
	v_fmac_f32_e32 v134, v136, v175
	v_fma_f32 v136, 0x3df6dbef, v115, -v186
	v_fma_f32 v115, 0x3f116cb1, v115, -v154
	;; [unrolled: 1-line block ×3, first 2 shown]
	v_add_f32_e32 v114, v151, v114
	s_delay_alu instid0(VALU_DEP_4) | instskip(NEXT) | instid1(VALU_DEP_4)
	v_add_f32_e32 v136, v136, v113
	v_add_f32_e32 v113, v115, v113
	;; [unrolled: 1-line block ×3, first 2 shown]
	v_fma_f32 v137, 0xbf788fa5, v119, -v187
	v_fma_f32 v119, 0xbeb58ec6, v119, -v158
	v_add_f32_e32 v114, v159, v114
	s_delay_alu instid0(VALU_DEP_3) | instskip(SKIP_1) | instid1(VALU_DEP_4)
	v_add_f32_e32 v136, v137, v136
	v_fma_f32 v137, 0xbeb58ec6, v156, -v189
	v_add_f32_e32 v113, v119, v113
	v_fma_f32 v119, 0x3f62ad3f, v153, -v191
	v_add_f32_e32 v114, v180, v114
	s_delay_alu instid0(VALU_DEP_4) | instskip(SKIP_1) | instid1(VALU_DEP_2)
	v_add_f32_e32 v136, v137, v136
	v_fma_f32 v137, 0xbf788fa5, v156, -v177
	v_dual_add_f32 v114, v182, v114 :: v_dual_add_f32 v119, v119, v136
	v_fma_f32 v136, 0xbf3f9e67, v153, -v181
	s_delay_alu instid0(VALU_DEP_3) | instskip(SKIP_2) | instid1(VALU_DEP_3)
	v_add_f32_e32 v113, v137, v113
	v_fma_f32 v137, 0x3f116cb1, v135, -v193
	v_fma_f32 v135, 0x3df6dbef, v135, -v183
	v_add_f32_e32 v113, v136, v113
	s_delay_alu instid0(VALU_DEP_3) | instskip(SKIP_2) | instid1(VALU_DEP_4)
	v_add_f32_e32 v119, v137, v119
	v_fma_f32 v136, 0x3f62ad3f, v140, -v185
	v_mad_co_u64_u32 v[140:141], null, s8, v141, v[27:28]
	v_add_f32_e32 v113, v135, v113
	s_delay_alu instid0(VALU_DEP_4) | instskip(SKIP_3) | instid1(VALU_DEP_4)
	v_add_f32_e32 v25, v25, v119
	v_add_f32_e32 v135, v184, v114
	v_mov_b32_e32 v141, v26
	v_mad_co_u64_u32 v[137:138], null, s8, v138, v[27:28]
	v_dual_add_f32 v119, v136, v113 :: v_dual_mul_f32 v114, v25, v148
	v_mov_b32_e32 v138, v26
	s_delay_alu instid0(VALU_DEP_4) | instskip(NEXT) | instid1(VALU_DEP_3)
	v_lshlrev_b64_e32 v[140:141], 3, v[140:141]
	v_mul_f32_e32 v136, v119, v149
	s_delay_alu instid0(VALU_DEP_3) | instskip(NEXT) | instid1(VALU_DEP_2)
	v_lshlrev_b64_e32 v[137:138], 3, v[137:138]
	v_dual_fmac_f32 v136, v135, v86 :: v_dual_add_f32 v115, v188, v115
	s_delay_alu instid0(VALU_DEP_1) | instskip(NEXT) | instid1(VALU_DEP_1)
	v_add_f32_e32 v115, v190, v115
	v_add_f32_e32 v115, v192, v115
	s_delay_alu instid0(VALU_DEP_1) | instskip(NEXT) | instid1(VALU_DEP_1)
	v_add_f32_e32 v115, v194, v115
	v_mul_f32_e32 v113, v115, v148
	v_fmac_f32_e32 v114, v115, v146
	v_mad_co_u64_u32 v[115:116], null, s8, v116, v[27:28]
	v_mov_b32_e32 v116, v26
	s_delay_alu instid0(VALU_DEP_4)
	v_fma_f32 v113, v25, v146, -v113
	v_mad_co_u64_u32 v[146:147], null, s8, v147, v[27:28]
	v_mul_f32_e32 v25, v135, v149
	v_mov_b32_e32 v147, v26
	v_mad_co_u64_u32 v[148:149], null, s8, v145, v[27:28]
	v_mov_b32_e32 v149, v26
	s_delay_alu instid0(VALU_DEP_4) | instskip(NEXT) | instid1(VALU_DEP_4)
	v_fma_f32 v135, v119, v86, -v25
	v_lshlrev_b64_e32 v[145:146], 3, v[146:147]
	v_mad_co_u64_u32 v[119:120], null, s8, v120, v[27:28]
	v_mov_b32_e32 v120, v26
	v_lshlrev_b64_e32 v[147:148], 3, v[148:149]
	v_mad_co_u64_u32 v[149:150], null, s8, v144, v[27:28]
	v_add_co_u32 v145, s0, s4, v145
	s_wait_alu 0xf1ff
	v_add_co_ci_u32_e64 v146, s0, s5, v146, s0
	s_delay_alu instid0(VALU_DEP_4)
	v_add_co_u32 v147, s0, s4, v147
	v_mov_b32_e32 v150, v26
	s_wait_alu 0xf1ff
	v_add_co_ci_u32_e64 v148, s0, s5, v148, s0
	s_clause 0x1
	global_store_b64 v[145:146], v[135:136], off
	global_store_b64 v[147:148], v[113:114], off
	v_lshlrev_b64_e32 v[113:114], 3, v[149:150]
	v_lshlrev_b64_e32 v[135:136], 3, v[142:143]
	;; [unrolled: 1-line block ×3, first 2 shown]
	s_delay_alu instid0(VALU_DEP_3) | instskip(SKIP_1) | instid1(VALU_DEP_4)
	v_add_co_u32 v113, s0, s4, v113
	s_wait_alu 0xf1ff
	v_add_co_ci_u32_e64 v114, s0, s5, v114, s0
	s_delay_alu instid0(VALU_DEP_4)
	v_add_co_u32 v135, s0, s4, v135
	s_wait_alu 0xf1ff
	v_add_co_ci_u32_e64 v136, s0, s5, v136, s0
	v_add_co_u32 v140, s0, s4, v140
	s_wait_alu 0xf1ff
	v_add_co_ci_u32_e64 v141, s0, s5, v141, s0
	;; [unrolled: 3-line block ×3, first 2 shown]
	s_clause 0x3
	global_store_b64 v[113:114], v[133:134], off
	global_store_b64 v[135:136], v[131:132], off
	global_store_b64 v[140:141], v[129:130], off
	global_store_b64 v[137:138], v[127:128], off
	v_lshlrev_b64_e32 v[113:114], 3, v[119:120]
	v_mad_co_u64_u32 v[119:120], null, s8, v28, v[27:28]
	v_mov_b32_e32 v120, v26
	v_mad_co_u64_u32 v[127:128], null, s8, v30, v[27:28]
	s_delay_alu instid0(VALU_DEP_4)
	v_add_co_u32 v113, s0, s4, v113
	v_mov_b32_e32 v128, v26
	v_mad_co_u64_u32 v[27:28], null, s8, v29, v[27:28]
	s_wait_alu 0xf1ff
	v_add_co_ci_u32_e64 v114, s0, s5, v114, s0
	v_lshlrev_b64_e32 v[119:120], 3, v[119:120]
	v_add_co_u32 v29, s0, s4, v115
	v_mov_b32_e32 v28, v26
	s_wait_alu 0xf1ff
	v_add_co_ci_u32_e64 v30, s0, s5, v116, s0
	v_lshlrev_b64_e32 v[115:116], 3, v[127:128]
	v_add_co_u32 v25, s0, s4, v119
	v_lshlrev_b64_e32 v[27:28], 3, v[27:28]
	s_wait_alu 0xf1ff
	v_add_co_ci_u32_e64 v26, s0, s5, v120, s0
	s_delay_alu instid0(VALU_DEP_4)
	v_add_co_u32 v115, s0, s4, v115
	s_wait_alu 0xf1ff
	v_add_co_ci_u32_e64 v116, s0, s5, v116, s0
	v_add_co_u32 v27, s0, s4, v27
	s_wait_alu 0xf1ff
	v_add_co_ci_u32_e64 v28, s0, s5, v28, s0
	s_clause 0x4
	global_store_b64 v[113:114], v[125:126], off
	global_store_b64 v[29:30], v[123:124], off
	;; [unrolled: 1-line block ×5, first 2 shown]
.LBB0_42:
	s_wait_alu 0xfffe
	s_or_b32 exec_lo, exec_lo, s2
	v_cmp_gt_u32_e64 s1, 57, v0
	v_cmp_lt_u32_e64 s0, 56, v0
	v_cndmask_b32_e64 v25, 0, 1, vcc_lo
	s_wait_alu 0xf1ff
	s_delay_alu instid0(VALU_DEP_3) | instskip(NEXT) | instid1(VALU_DEP_3)
	v_cndmask_b32_e64 v0, 0, 1, s1
	s_or_b32 vcc_lo, s0, s9
	s_mov_b32 s0, exec_lo
	s_wait_alu 0xfffe
	s_delay_alu instid0(VALU_DEP_1) | instskip(NEXT) | instid1(VALU_DEP_1)
	v_cndmask_b32_e32 v0, v25, v0, vcc_lo
	v_and_b32_e32 v0, 1, v0
	s_delay_alu instid0(VALU_DEP_1)
	v_cmpx_eq_u32_e32 1, v0
	s_cbranch_execz .LBB0_44
; %bb.43:
	s_wait_loadcnt_dscnt 0x1c0b
	v_mul_f32_e32 v0, v94, v22
	s_wait_dscnt 0xa
	v_dual_mul_f32 v22, v93, v22 :: v_dual_mul_f32 v25, v90, v24
	v_mul_f32_e32 v24, v89, v24
	s_wait_dscnt 0x9
	v_mul_f32_e32 v26, v108, v18
	v_fma_f32 v0, v93, v21, -v0
	v_fmac_f32_e32 v22, v94, v21
	v_fma_f32 v21, v89, v23, -v25
	v_dual_fmac_f32 v24, v90, v23 :: v_dual_mul_f32 v23, v107, v18
	v_fma_f32 v25, v107, v17, -v26
	s_delay_alu instid0(VALU_DEP_2) | instskip(SKIP_2) | instid1(VALU_DEP_1)
	v_fmac_f32_e32 v23, v108, v17
	s_wait_dscnt 0x7
	v_dual_mul_f32 v17, v111, v14 :: v_dual_mul_f32 v18, v110, v20
	v_fmac_f32_e32 v17, v112, v13
	v_mul_f32_e32 v26, v112, v14
	s_delay_alu instid0(VALU_DEP_3) | instskip(NEXT) | instid1(VALU_DEP_2)
	v_fma_f32 v27, v109, v19, -v18
	v_fma_f32 v18, v111, v13, -v26
	s_wait_dscnt 0x6
	v_mul_f32_e32 v13, v101, v16
	s_delay_alu instid0(VALU_DEP_1) | instskip(NEXT) | instid1(VALU_DEP_1)
	v_dual_mul_f32 v20, v109, v20 :: v_dual_fmac_f32 v13, v102, v15
	v_dual_fmac_f32 v20, v110, v19 :: v_dual_add_f32 v19, v88, v22
	s_delay_alu instid0(VALU_DEP_1) | instskip(NEXT) | instid1(VALU_DEP_1)
	v_add_f32_e32 v19, v19, v24
	v_dual_mul_f32 v14, v102, v16 :: v_dual_add_f32 v19, v19, v23
	s_wait_dscnt 0x5
	v_mul_f32_e32 v26, v106, v10
	v_mul_f32_e32 v10, v105, v10
	s_delay_alu instid0(VALU_DEP_3) | instskip(NEXT) | instid1(VALU_DEP_3)
	v_fma_f32 v14, v101, v15, -v14
	v_fma_f32 v15, v105, v9, -v26
	s_wait_dscnt 0x4
	s_delay_alu instid0(VALU_DEP_3) | instskip(SKIP_3) | instid1(VALU_DEP_4)
	v_dual_fmac_f32 v10, v106, v9 :: v_dual_mul_f32 v9, v103, v12
	v_add_f32_e32 v16, v87, v0
	v_mul_f32_e32 v26, v104, v12
	v_add_f32_e32 v19, v19, v20
	v_fmac_f32_e32 v9, v104, v11
	s_delay_alu instid0(VALU_DEP_4) | instskip(NEXT) | instid1(VALU_DEP_4)
	v_add_f32_e32 v16, v16, v21
	v_fma_f32 v12, v103, v11, -v26
	s_wait_loadcnt_dscnt 0x1a03
	v_mul_f32_e32 v26, v100, v6
	v_mul_f32_e32 v6, v99, v6
	v_add_f32_e32 v16, v16, v25
	s_delay_alu instid0(VALU_DEP_2) | instskip(NEXT) | instid1(VALU_DEP_2)
	v_fmac_f32_e32 v6, v100, v5
	v_add_f32_e32 v16, v16, v27
	s_delay_alu instid0(VALU_DEP_1) | instskip(SKIP_1) | instid1(VALU_DEP_2)
	v_dual_add_f32 v11, v16, v18 :: v_dual_add_f32 v16, v19, v17
	v_fma_f32 v19, v99, v5, -v26
	v_add_f32_e32 v5, v11, v14
	s_delay_alu instid0(VALU_DEP_1) | instskip(NEXT) | instid1(VALU_DEP_1)
	v_add_f32_e32 v5, v5, v15
	v_add_f32_e32 v5, v5, v12
	s_delay_alu instid0(VALU_DEP_1) | instskip(SKIP_2) | instid1(VALU_DEP_1)
	v_add_f32_e32 v5, v5, v19
	v_add_f32_e32 v11, v16, v13
	s_wait_dscnt 0x2
	v_dual_add_f32 v11, v11, v10 :: v_dual_mul_f32 v26, v98, v8
	s_delay_alu instid0(VALU_DEP_1) | instskip(NEXT) | instid1(VALU_DEP_2)
	v_add_f32_e32 v11, v11, v9
	v_fma_f32 v16, v97, v7, -v26
	s_wait_dscnt 0x1
	v_mul_f32_e32 v26, v92, v2
	v_mul_f32_e32 v2, v91, v2
	s_delay_alu instid0(VALU_DEP_2) | instskip(NEXT) | instid1(VALU_DEP_2)
	v_fma_f32 v26, v91, v1, -v26
	v_dual_fmac_f32 v2, v92, v1 :: v_dual_add_f32 v1, v5, v16
	v_dual_mul_f32 v8, v97, v8 :: v_dual_add_f32 v11, v11, v6
	s_wait_dscnt 0x0
	s_delay_alu instid0(VALU_DEP_1) | instskip(SKIP_1) | instid1(VALU_DEP_2)
	v_dual_fmac_f32 v8, v98, v7 :: v_dual_mul_f32 v7, v95, v4
	v_mul_f32_e32 v4, v96, v4
	v_add_f32_e32 v5, v11, v8
	s_delay_alu instid0(VALU_DEP_3) | instskip(NEXT) | instid1(VALU_DEP_3)
	v_fmac_f32_e32 v7, v96, v3
	v_fma_f32 v3, v95, v3, -v4
	s_delay_alu instid0(VALU_DEP_2) | instskip(NEXT) | instid1(VALU_DEP_2)
	v_dual_add_f32 v5, v5, v2 :: v_dual_sub_f32 v4, v22, v7
	v_add_f32_e32 v11, v0, v3
	v_sub_f32_e32 v29, v0, v3
	v_add_f32_e32 v22, v22, v7
	s_delay_alu instid0(VALU_DEP_2) | instskip(SKIP_1) | instid1(VALU_DEP_2)
	v_dual_mul_f32 v28, 0xbeedf032, v4 :: v_dual_mul_f32 v31, 0xbeedf032, v29
	v_add_f32_e32 v0, v1, v26
	v_fma_f32 v30, 0x3f62ad3f, v11, -v28
	v_fmac_f32_e32 v28, 0x3f62ad3f, v11
	s_delay_alu instid0(VALU_DEP_3) | instskip(NEXT) | instid1(VALU_DEP_3)
	v_add_f32_e32 v1, v0, v3
	v_dual_add_f32 v3, v87, v30 :: v_dual_add_f32 v0, v5, v7
	v_mul_f32_e32 v89, 0xbf7e222b, v4
	v_fmamk_f32 v7, v22, 0x3f62ad3f, v31
	v_fma_f32 v30, 0x3f62ad3f, v22, -v31
	v_mul_f32_e32 v31, 0xbf52af12, v29
	v_mul_f32_e32 v5, 0xbf52af12, v4
	v_fma_f32 v91, 0x3df6dbef, v11, -v89
	v_dual_add_f32 v7, v88, v7 :: v_dual_mul_f32 v90, 0xbf7e222b, v29
	s_delay_alu instid0(VALU_DEP_4) | instskip(NEXT) | instid1(VALU_DEP_3)
	v_fmamk_f32 v86, v22, 0x3f116cb1, v31
	v_dual_mul_f32 v96, 0xbf29c268, v4 :: v_dual_add_f32 v91, v87, v91
	s_delay_alu instid0(VALU_DEP_3) | instskip(NEXT) | instid1(VALU_DEP_3)
	v_dual_sub_f32 v102, v24, v2 :: v_dual_fmamk_f32 v93, v22, 0x3df6dbef, v90
	v_add_f32_e32 v86, v88, v86
	v_mul_f32_e32 v92, 0xbf6f5d39, v4
	v_fma_f32 v90, 0x3df6dbef, v22, -v90
	v_fmac_f32_e32 v89, 0x3df6dbef, v11
	v_dual_add_f32 v93, v88, v93 :: v_dual_mul_f32 v4, 0xbe750f2a, v4
	s_delay_alu instid0(VALU_DEP_4) | instskip(NEXT) | instid1(VALU_DEP_4)
	v_fma_f32 v94, 0xbeb58ec6, v11, -v92
	v_dual_mul_f32 v95, 0xbf6f5d39, v29 :: v_dual_add_f32 v90, v88, v90
	s_delay_alu instid0(VALU_DEP_4) | instskip(SKIP_1) | instid1(VALU_DEP_3)
	v_add_f32_e32 v89, v87, v89
	v_fma_f32 v99, 0xbf3f9e67, v11, -v96
	v_dual_add_f32 v94, v87, v94 :: v_dual_fmamk_f32 v97, v22, 0xbeb58ec6, v95
	v_fmac_f32_e32 v92, 0xbeb58ec6, v11
	v_fma_f32 v95, 0xbeb58ec6, v22, -v95
	v_mul_f32_e32 v98, 0xbf29c268, v29
	v_mul_f32_e32 v29, 0xbe750f2a, v29
	v_fma_f32 v101, 0xbf788fa5, v11, -v4
	v_fmac_f32_e32 v96, 0xbf3f9e67, v11
	s_delay_alu instid0(VALU_DEP_4)
	v_dual_add_f32 v95, v88, v95 :: v_dual_fmamk_f32 v100, v22, 0xbf3f9e67, v98
	v_add_f32_e32 v99, v87, v99
	v_fmamk_f32 v103, v22, 0xbf788fa5, v29
	v_add_f32_e32 v101, v87, v101
	v_dual_add_f32 v96, v87, v96 :: v_dual_mul_f32 v105, 0xbf52af12, v102
	v_add_f32_e32 v100, v88, v100
	s_delay_alu instid0(VALU_DEP_4)
	v_dual_add_f32 v104, v21, v26 :: v_dual_add_f32 v103, v88, v103
	v_fma_f32 v32, 0x3f116cb1, v11, -v5
	v_dual_add_f32 v30, v88, v30 :: v_dual_fmac_f32 v5, 0x3f116cb1, v11
	v_fma_f32 v31, 0x3f116cb1, v22, -v31
	v_fma_f32 v98, 0xbf3f9e67, v22, -v98
	v_dual_sub_f32 v21, v21, v26 :: v_dual_fmac_f32 v4, 0xbf788fa5, v11
	v_fma_f32 v11, 0xbf788fa5, v22, -v29
	v_fma_f32 v22, 0x3f116cb1, v104, -v105
	s_delay_alu instid0(VALU_DEP_3) | instskip(NEXT) | instid1(VALU_DEP_3)
	v_dual_add_f32 v2, v24, v2 :: v_dual_mul_f32 v29, 0xbf6f5d39, v21
	v_dual_mul_f32 v24, 0xbf52af12, v21 :: v_dual_add_f32 v11, v88, v11
	s_delay_alu instid0(VALU_DEP_3)
	v_dual_add_f32 v3, v22, v3 :: v_dual_mul_f32 v22, 0xbf6f5d39, v102
	v_dual_add_f32 v32, v87, v32 :: v_dual_add_f32 v31, v88, v31
	v_add_f32_e32 v5, v87, v5
	v_dual_add_f32 v28, v87, v28 :: v_dual_add_f32 v97, v88, v97
	v_add_f32_e32 v92, v87, v92
	v_fmamk_f32 v26, v2, 0x3f116cb1, v24
	v_add_f32_e32 v4, v87, v4
	v_fma_f32 v24, 0x3f116cb1, v2, -v24
	v_fma_f32 v87, 0xbeb58ec6, v104, -v22
	v_dual_add_f32 v98, v88, v98 :: v_dual_fmac_f32 v105, 0x3f116cb1, v104
	s_delay_alu instid0(VALU_DEP_3) | instskip(NEXT) | instid1(VALU_DEP_3)
	v_dual_add_f32 v7, v26, v7 :: v_dual_add_f32 v24, v24, v30
	v_add_f32_e32 v30, v87, v32
	v_mul_f32_e32 v32, 0xbe750f2a, v102
	s_delay_alu instid0(VALU_DEP_1) | instskip(NEXT) | instid1(VALU_DEP_1)
	v_fma_f32 v87, 0xbf788fa5, v104, -v32
	v_dual_add_f32 v87, v87, v91 :: v_dual_fmac_f32 v22, 0xbeb58ec6, v104
	v_add_f32_e32 v26, v105, v28
	v_fmamk_f32 v28, v2, 0xbeb58ec6, v29
	v_fma_f32 v29, 0xbeb58ec6, v2, -v29
	v_mul_f32_e32 v91, 0x3f29c268, v21
	s_delay_alu instid0(VALU_DEP_2) | instskip(SKIP_1) | instid1(VALU_DEP_1)
	v_dual_add_f32 v5, v22, v5 :: v_dual_add_f32 v22, v29, v31
	v_mul_f32_e32 v29, 0x3f29c268, v102
	v_fma_f32 v88, 0xbf3f9e67, v104, -v29
	s_delay_alu instid0(VALU_DEP_1) | instskip(NEXT) | instid1(VALU_DEP_1)
	v_dual_fmac_f32 v29, 0xbf3f9e67, v104 :: v_dual_add_f32 v88, v88, v94
	v_dual_add_f32 v29, v29, v92 :: v_dual_add_f32 v28, v28, v86
	v_mul_f32_e32 v86, 0xbe750f2a, v21
	s_delay_alu instid0(VALU_DEP_1) | instskip(SKIP_1) | instid1(VALU_DEP_1)
	v_fmamk_f32 v31, v2, 0xbf788fa5, v86
	v_fma_f32 v86, 0xbf788fa5, v2, -v86
	v_dual_add_f32 v31, v31, v93 :: v_dual_add_f32 v86, v86, v90
	v_mul_f32_e32 v93, 0x3f7e222b, v21
	v_fmamk_f32 v90, v2, 0xbf3f9e67, v91
	v_fma_f32 v91, 0xbf3f9e67, v2, -v91
	v_mul_f32_e32 v21, 0x3eedf032, v21
	s_delay_alu instid0(VALU_DEP_4) | instskip(NEXT) | instid1(VALU_DEP_3)
	v_fmamk_f32 v92, v2, 0x3df6dbef, v93
	v_dual_add_f32 v90, v90, v97 :: v_dual_add_f32 v91, v91, v95
	v_mul_f32_e32 v95, 0x3eedf032, v102
	v_fma_f32 v93, 0x3df6dbef, v2, -v93
	s_delay_alu instid0(VALU_DEP_4) | instskip(NEXT) | instid1(VALU_DEP_3)
	v_add_f32_e32 v92, v92, v100
	v_fma_f32 v97, 0x3f62ad3f, v104, -v95
	s_delay_alu instid0(VALU_DEP_3) | instskip(SKIP_2) | instid1(VALU_DEP_4)
	v_dual_fmac_f32 v32, 0xbf788fa5, v104 :: v_dual_add_f32 v93, v93, v98
	v_add_f32_e32 v98, v25, v16
	v_sub_f32_e32 v16, v25, v16
	v_add_f32_e32 v97, v97, v101
	s_delay_alu instid0(VALU_DEP_4) | instskip(NEXT) | instid1(VALU_DEP_1)
	v_dual_add_f32 v32, v32, v89 :: v_dual_mul_f32 v89, 0x3f7e222b, v102
	v_fma_f32 v94, 0x3df6dbef, v104, -v89
	s_delay_alu instid0(VALU_DEP_1) | instskip(NEXT) | instid1(VALU_DEP_1)
	v_dual_fmac_f32 v89, 0x3df6dbef, v104 :: v_dual_add_f32 v94, v94, v99
	v_add_f32_e32 v89, v89, v96
	v_dual_sub_f32 v96, v23, v8 :: v_dual_fmamk_f32 v99, v2, 0x3f62ad3f, v21
	v_fma_f32 v2, 0x3f62ad3f, v2, -v21
	v_add_f32_e32 v8, v23, v8
	v_mul_f32_e32 v23, 0xbf7e222b, v16
	s_delay_alu instid0(VALU_DEP_4) | instskip(NEXT) | instid1(VALU_DEP_4)
	v_mul_f32_e32 v100, 0xbf7e222b, v96
	v_dual_fmac_f32 v95, 0x3f62ad3f, v104 :: v_dual_add_f32 v2, v2, v11
	v_add_f32_e32 v99, v99, v103
	s_delay_alu instid0(VALU_DEP_3) | instskip(NEXT) | instid1(VALU_DEP_1)
	v_fma_f32 v21, 0x3df6dbef, v98, -v100
	v_dual_add_f32 v4, v95, v4 :: v_dual_add_f32 v3, v21, v3
	v_fmamk_f32 v21, v8, 0x3df6dbef, v23
	v_mul_f32_e32 v11, 0xbe750f2a, v96
	s_delay_alu instid0(VALU_DEP_2) | instskip(NEXT) | instid1(VALU_DEP_1)
	v_dual_add_f32 v7, v21, v7 :: v_dual_fmac_f32 v100, 0x3df6dbef, v98
	v_add_f32_e32 v21, v100, v26
	s_delay_alu instid0(VALU_DEP_3) | instskip(SKIP_1) | instid1(VALU_DEP_2)
	v_fma_f32 v95, 0xbf788fa5, v98, -v11
	v_fmac_f32_e32 v11, 0xbf788fa5, v98
	v_dual_mul_f32 v25, 0xbe750f2a, v16 :: v_dual_add_f32 v26, v95, v30
	v_fma_f32 v23, 0x3df6dbef, v8, -v23
	s_delay_alu instid0(VALU_DEP_3) | instskip(NEXT) | instid1(VALU_DEP_2)
	v_dual_mul_f32 v30, 0x3f6f5d39, v96 :: v_dual_add_f32 v5, v11, v5
	v_dual_add_f32 v23, v23, v24 :: v_dual_fmamk_f32 v24, v8, 0xbf788fa5, v25
	v_fma_f32 v25, 0xbf788fa5, v8, -v25
	s_delay_alu instid0(VALU_DEP_3) | instskip(NEXT) | instid1(VALU_DEP_3)
	v_fma_f32 v95, 0xbeb58ec6, v98, -v30
	v_add_f32_e32 v24, v24, v28
	s_delay_alu instid0(VALU_DEP_3) | instskip(NEXT) | instid1(VALU_DEP_3)
	v_dual_mul_f32 v28, 0x3f6f5d39, v16 :: v_dual_add_f32 v11, v25, v22
	v_dual_mul_f32 v22, 0x3eedf032, v96 :: v_dual_add_f32 v87, v95, v87
	v_fmac_f32_e32 v30, 0xbeb58ec6, v98
	s_delay_alu instid0(VALU_DEP_3) | instskip(NEXT) | instid1(VALU_DEP_3)
	v_fmamk_f32 v25, v8, 0xbeb58ec6, v28
	v_fma_f32 v95, 0x3f62ad3f, v98, -v22
	s_delay_alu instid0(VALU_DEP_2) | instskip(SKIP_1) | instid1(VALU_DEP_3)
	v_dual_add_f32 v30, v30, v32 :: v_dual_add_f32 v25, v25, v31
	v_mul_f32_e32 v31, 0x3eedf032, v16
	v_add_f32_e32 v32, v95, v88
	s_delay_alu instid0(VALU_DEP_2) | instskip(SKIP_1) | instid1(VALU_DEP_1)
	v_fmamk_f32 v88, v8, 0x3f62ad3f, v31
	v_fma_f32 v31, 0x3f62ad3f, v8, -v31
	v_add_f32_e32 v31, v31, v91
	v_fma_f32 v28, 0xbeb58ec6, v8, -v28
	s_delay_alu instid0(VALU_DEP_1) | instskip(SKIP_1) | instid1(VALU_DEP_1)
	v_add_f32_e32 v28, v28, v86
	v_mul_f32_e32 v86, 0xbf52af12, v96
	v_fma_f32 v100, 0x3f116cb1, v98, -v86
	v_fmac_f32_e32 v86, 0x3f116cb1, v98
	v_mul_f32_e32 v95, 0xbf52af12, v16
	v_mul_f32_e32 v91, 0xbf29c268, v96
	;; [unrolled: 1-line block ×3, first 2 shown]
	s_delay_alu instid0(VALU_DEP_4) | instskip(SKIP_2) | instid1(VALU_DEP_3)
	v_dual_add_f32 v86, v86, v89 :: v_dual_sub_f32 v89, v20, v6
	v_fmac_f32_e32 v22, 0x3f62ad3f, v98
	v_add_f32_e32 v6, v20, v6
	v_mul_f32_e32 v96, 0xbf6f5d39, v89
	s_delay_alu instid0(VALU_DEP_3) | instskip(NEXT) | instid1(VALU_DEP_1)
	v_dual_add_f32 v22, v22, v29 :: v_dual_fmamk_f32 v29, v8, 0x3f116cb1, v95
	v_add_f32_e32 v29, v29, v92
	v_fma_f32 v92, 0x3f116cb1, v8, -v95
	v_fmamk_f32 v95, v8, 0xbf3f9e67, v16
	v_fma_f32 v8, 0xbf3f9e67, v8, -v16
	s_delay_alu instid0(VALU_DEP_2)
	v_dual_add_f32 v92, v92, v93 :: v_dual_add_f32 v95, v95, v99
	v_add_f32_e32 v88, v88, v90
	v_add_f32_e32 v90, v100, v94
	v_fma_f32 v94, 0xbf3f9e67, v98, -v91
	v_fmac_f32_e32 v91, 0xbf3f9e67, v98
	v_add_f32_e32 v2, v8, v2
	v_mul_f32_e32 v8, 0x3f29c268, v89
	s_delay_alu instid0(VALU_DEP_4) | instskip(SKIP_2) | instid1(VALU_DEP_3)
	v_dual_add_f32 v93, v94, v97 :: v_dual_add_f32 v94, v27, v19
	v_sub_f32_e32 v19, v27, v19
	v_add_f32_e32 v4, v91, v4
	v_fma_f32 v16, 0xbeb58ec6, v94, -v96
	s_delay_alu instid0(VALU_DEP_3) | instskip(SKIP_1) | instid1(VALU_DEP_2)
	v_mul_f32_e32 v20, 0xbf6f5d39, v19
	v_mul_f32_e32 v27, 0x3f29c268, v19
	v_dual_add_f32 v3, v16, v3 :: v_dual_fmamk_f32 v16, v6, 0xbeb58ec6, v20
	s_delay_alu instid0(VALU_DEP_1) | instskip(NEXT) | instid1(VALU_DEP_1)
	v_dual_add_f32 v7, v16, v7 :: v_dual_fmac_f32 v96, 0xbeb58ec6, v94
	v_dual_add_f32 v16, v96, v21 :: v_dual_fmamk_f32 v21, v6, 0xbf3f9e67, v27
	v_fma_f32 v91, 0xbf3f9e67, v94, -v8
	v_fma_f32 v27, 0xbf3f9e67, v6, -v27
	s_delay_alu instid0(VALU_DEP_3) | instskip(SKIP_1) | instid1(VALU_DEP_1)
	v_add_f32_e32 v21, v21, v24
	v_fma_f32 v20, 0xbeb58ec6, v6, -v20
	v_dual_add_f32 v20, v20, v23 :: v_dual_add_f32 v23, v91, v26
	v_mul_f32_e32 v26, 0x3eedf032, v89
	s_delay_alu instid0(VALU_DEP_1) | instskip(NEXT) | instid1(VALU_DEP_1)
	v_fma_f32 v91, 0x3f62ad3f, v94, -v26
	v_dual_add_f32 v87, v91, v87 :: v_dual_fmac_f32 v8, 0xbf3f9e67, v94
	s_delay_alu instid0(VALU_DEP_1) | instskip(SKIP_1) | instid1(VALU_DEP_1)
	v_dual_add_f32 v5, v8, v5 :: v_dual_add_f32 v8, v27, v11
	v_mul_f32_e32 v11, 0xbf7e222b, v89
	v_fma_f32 v91, 0x3df6dbef, v94, -v11
	v_fmac_f32_e32 v11, 0x3df6dbef, v94
	s_delay_alu instid0(VALU_DEP_1) | instskip(SKIP_1) | instid1(VALU_DEP_1)
	v_add_f32_e32 v11, v11, v22
	v_fmac_f32_e32 v26, 0x3f62ad3f, v94
	v_add_f32_e32 v26, v26, v30
	v_mul_f32_e32 v30, 0x3e750f2a, v89
	s_delay_alu instid0(VALU_DEP_1) | instskip(SKIP_2) | instid1(VALU_DEP_2)
	v_fma_f32 v96, 0xbf788fa5, v94, -v30
	v_mul_f32_e32 v24, 0x3eedf032, v19
	v_fmac_f32_e32 v30, 0xbf788fa5, v94
	v_fmamk_f32 v27, v6, 0x3f62ad3f, v24
	v_fma_f32 v24, 0x3f62ad3f, v6, -v24
	s_delay_alu instid0(VALU_DEP_2) | instskip(NEXT) | instid1(VALU_DEP_2)
	v_add_f32_e32 v25, v27, v25
	v_dual_mul_f32 v27, 0xbf7e222b, v19 :: v_dual_add_f32 v24, v24, v28
	v_dual_add_f32 v28, v91, v32 :: v_dual_mul_f32 v91, 0x3e750f2a, v19
	v_mul_f32_e32 v19, 0x3f52af12, v19
	s_delay_alu instid0(VALU_DEP_3) | instskip(SKIP_1) | instid1(VALU_DEP_1)
	v_fmamk_f32 v32, v6, 0x3df6dbef, v27
	v_fma_f32 v27, 0x3df6dbef, v6, -v27
	v_dual_fmamk_f32 v22, v6, 0xbf788fa5, v91 :: v_dual_add_f32 v27, v27, v31
	s_delay_alu instid0(VALU_DEP_1)
	v_dual_add_f32 v31, v96, v90 :: v_dual_add_f32 v22, v22, v29
	v_fma_f32 v29, 0xbf788fa5, v6, -v91
	v_add_f32_e32 v91, v18, v12
	v_sub_f32_e32 v12, v18, v12
	v_add_f32_e32 v30, v30, v86
	v_sub_f32_e32 v86, v17, v9
	v_add_f32_e32 v29, v29, v92
	v_add_f32_e32 v9, v17, v9
	v_mul_f32_e32 v17, 0xbf29c268, v12
	v_fmamk_f32 v90, v6, 0x3f116cb1, v19
	v_mul_f32_e32 v92, 0xbf29c268, v86
	v_fma_f32 v6, 0x3f116cb1, v6, -v19
	v_mul_f32_e32 v19, 0x3f7e222b, v12
	s_delay_alu instid0(VALU_DEP_3) | instskip(NEXT) | instid1(VALU_DEP_3)
	v_fma_f32 v18, 0xbf3f9e67, v91, -v92
	v_add_f32_e32 v2, v6, v2
	s_delay_alu instid0(VALU_DEP_2) | instskip(SKIP_3) | instid1(VALU_DEP_4)
	v_dual_add_f32 v3, v18, v3 :: v_dual_fmamk_f32 v18, v9, 0xbf3f9e67, v17
	v_add_f32_e32 v32, v32, v88
	v_mul_f32_e32 v88, 0x3f52af12, v89
	v_fma_f32 v17, 0xbf3f9e67, v9, -v17
	v_add_f32_e32 v7, v18, v7
	s_delay_alu instid0(VALU_DEP_3) | instskip(NEXT) | instid1(VALU_DEP_3)
	v_fma_f32 v89, 0x3f116cb1, v94, -v88
	v_dual_fmac_f32 v88, 0x3f116cb1, v94 :: v_dual_add_f32 v17, v17, v20
	s_delay_alu instid0(VALU_DEP_2) | instskip(SKIP_1) | instid1(VALU_DEP_3)
	v_add_f32_e32 v89, v89, v93
	v_fmamk_f32 v18, v9, 0x3df6dbef, v19
	v_add_f32_e32 v4, v88, v4
	v_fma_f32 v19, 0x3df6dbef, v9, -v19
	s_delay_alu instid0(VALU_DEP_3) | instskip(SKIP_1) | instid1(VALU_DEP_1)
	v_dual_add_f32 v18, v18, v21 :: v_dual_mul_f32 v21, 0xbf52af12, v12
	v_mul_f32_e32 v6, 0x3f7e222b, v86
	v_fma_f32 v88, 0x3df6dbef, v91, -v6
	v_fmac_f32_e32 v6, 0x3df6dbef, v91
	s_delay_alu instid0(VALU_DEP_2) | instskip(NEXT) | instid1(VALU_DEP_2)
	v_dual_add_f32 v20, v88, v23 :: v_dual_mul_f32 v23, 0xbf52af12, v86
	v_dual_add_f32 v5, v6, v5 :: v_dual_add_f32 v6, v19, v8
	v_mul_f32_e32 v8, 0x3e750f2a, v86
	v_fmamk_f32 v19, v9, 0x3f116cb1, v21
	s_delay_alu instid0(VALU_DEP_4) | instskip(SKIP_2) | instid1(VALU_DEP_4)
	v_fma_f32 v88, 0x3f116cb1, v91, -v23
	v_fma_f32 v21, 0x3f116cb1, v9, -v21
	v_fmac_f32_e32 v23, 0x3f116cb1, v91
	v_add_f32_e32 v19, v19, v25
	s_delay_alu instid0(VALU_DEP_4) | instskip(SKIP_4) | instid1(VALU_DEP_3)
	v_add_f32_e32 v87, v88, v87
	v_add_f32_e32 v90, v90, v95
	v_fma_f32 v88, 0xbf788fa5, v91, -v8
	v_dual_add_f32 v21, v21, v24 :: v_dual_fmac_f32 v8, 0xbf788fa5, v91
	v_mul_f32_e32 v25, 0x3e750f2a, v12
	v_dual_add_f32 v23, v23, v26 :: v_dual_add_f32 v24, v88, v28
	v_mul_f32_e32 v88, 0x3eedf032, v12
	v_mul_f32_e32 v26, 0x3eedf032, v86
	v_add_f32_e32 v8, v8, v11
	v_fmamk_f32 v28, v9, 0xbf788fa5, v25
	v_fma_f32 v25, 0xbf788fa5, v9, -v25
	v_fmamk_f32 v11, v9, 0x3f62ad3f, v88
	v_fmac_f32_e32 v92, 0xbf3f9e67, v91
	s_delay_alu instid0(VALU_DEP_3) | instskip(NEXT) | instid1(VALU_DEP_2)
	v_dual_add_f32 v28, v28, v32 :: v_dual_add_f32 v25, v25, v27
	v_dual_add_f32 v11, v11, v22 :: v_dual_add_f32 v16, v92, v16
	v_fma_f32 v92, 0x3f62ad3f, v91, -v26
	v_fmac_f32_e32 v26, 0x3f62ad3f, v91
	v_fma_f32 v22, 0x3f62ad3f, v9, -v88
	s_delay_alu instid0(VALU_DEP_3) | instskip(SKIP_1) | instid1(VALU_DEP_4)
	v_add_f32_e32 v27, v92, v31
	v_mul_f32_e32 v31, 0xbf6f5d39, v86
	v_add_f32_e32 v26, v26, v30
	v_sub_f32_e32 v30, v13, v10
	v_add_f32_e32 v22, v22, v29
	v_add_f32_e32 v10, v13, v10
	v_fma_f32 v32, 0xbeb58ec6, v91, -v31
	v_fmac_f32_e32 v31, 0xbeb58ec6, v91
	s_delay_alu instid0(VALU_DEP_2) | instskip(SKIP_3) | instid1(VALU_DEP_2)
	v_dual_mul_f32 v88, 0xbe750f2a, v30 :: v_dual_add_f32 v29, v32, v89
	v_add_f32_e32 v32, v14, v15
	v_sub_f32_e32 v14, v14, v15
	v_mul_f32_e32 v12, 0xbf6f5d39, v12
	v_dual_add_f32 v4, v31, v4 :: v_dual_mul_f32 v13, 0xbe750f2a, v14
	s_delay_alu instid0(VALU_DEP_2) | instskip(SKIP_4) | instid1(VALU_DEP_3)
	v_fmamk_f32 v86, v9, 0xbeb58ec6, v12
	v_fma_f32 v9, 0xbeb58ec6, v9, -v12
	v_fma_f32 v12, 0xbf788fa5, v32, -v88
	v_fmac_f32_e32 v88, 0xbf788fa5, v32
	v_mul_f32_e32 v15, 0x3eedf032, v14
	v_dual_add_f32 v2, v9, v2 :: v_dual_add_f32 v9, v12, v3
	v_mul_f32_e32 v3, 0x3eedf032, v30
	v_fmamk_f32 v12, v10, 0xbf788fa5, v13
	v_fma_f32 v13, 0xbf788fa5, v10, -v13
	s_delay_alu instid0(VALU_DEP_3) | instskip(SKIP_1) | instid1(VALU_DEP_3)
	v_fma_f32 v31, 0x3f62ad3f, v32, -v3
	v_fmac_f32_e32 v3, 0x3f62ad3f, v32
	v_add_f32_e32 v89, v13, v17
	v_mul_f32_e32 v17, 0xbf29c268, v14
	v_dual_add_f32 v7, v12, v7 :: v_dual_fmamk_f32 v12, v10, 0x3f62ad3f, v15
	v_add_f32_e32 v13, v31, v20
	v_add_f32_e32 v31, v3, v5
	s_delay_alu instid0(VALU_DEP_4)
	v_dual_fmamk_f32 v5, v10, 0xbf3f9e67, v17 :: v_dual_add_f32 v88, v88, v16
	v_mul_f32_e32 v16, 0xbf29c268, v30
	v_fma_f32 v15, 0x3f62ad3f, v10, -v15
	v_add_f32_e32 v12, v12, v18
	v_mul_f32_e32 v3, 0x3f52af12, v30
	v_add_f32_e32 v86, v86, v90
	v_fma_f32 v18, 0xbf3f9e67, v32, -v16
	v_add_f32_e32 v90, v15, v6
	v_fma_f32 v15, 0xbf3f9e67, v10, -v17
	s_delay_alu instid0(VALU_DEP_3) | instskip(SKIP_3) | instid1(VALU_DEP_2)
	v_add_f32_e32 v6, v18, v87
	v_dual_add_f32 v18, v5, v19 :: v_dual_mul_f32 v5, 0x3f52af12, v14
	v_fmac_f32_e32 v16, 0xbf3f9e67, v32
	v_fma_f32 v17, 0x3f116cb1, v32, -v3
	v_dual_fmac_f32 v3, 0x3f116cb1, v32 :: v_dual_add_f32 v20, v16, v23
	v_add_f32_e32 v23, v15, v21
	s_delay_alu instid0(VALU_DEP_3) | instskip(SKIP_4) | instid1(VALU_DEP_4)
	v_add_f32_e32 v15, v17, v24
	v_fmamk_f32 v17, v10, 0x3f116cb1, v5
	v_fma_f32 v5, 0x3f116cb1, v10, -v5
	v_mul_f32_e32 v16, 0xbf6f5d39, v30
	v_add_f32_e32 v24, v3, v8
	v_add_f32_e32 v17, v17, v28
	s_delay_alu instid0(VALU_DEP_4)
	v_add_f32_e32 v25, v5, v25
	v_mul_f32_e32 v19, 0xbf6f5d39, v14
	v_fma_f32 v21, 0xbeb58ec6, v32, -v16
	v_mul_f32_e32 v5, 0x3f7e222b, v30
	v_mul_f32_e32 v8, 0x3f7e222b, v14
	s_wait_loadcnt 0x18
	v_mul_f32_e32 v14, v82, v85
	v_fmamk_f32 v3, v10, 0xbeb58ec6, v19
	v_add_f32_e32 v21, v21, v27
	s_delay_alu instid0(VALU_DEP_2) | instskip(SKIP_4) | instid1(VALU_DEP_2)
	v_add_f32_e32 v27, v3, v11
	v_fma_f32 v11, 0x3df6dbef, v32, -v5
	v_fmac_f32_e32 v5, 0x3df6dbef, v32
	v_fma_f32 v3, 0xbeb58ec6, v10, -v19
	s_wait_loadcnt 0x16
	v_dual_add_f32 v28, v5, v4 :: v_dual_mul_f32 v5, v63, v65
	s_delay_alu instid0(VALU_DEP_2) | instskip(NEXT) | instid1(VALU_DEP_2)
	v_dual_add_f32 v22, v3, v22 :: v_dual_fmamk_f32 v3, v10, 0x3df6dbef, v8
	v_fma_f32 v5, v62, v64, -v5
	v_fmac_f32_e32 v16, 0xbeb58ec6, v32
	s_delay_alu instid0(VALU_DEP_1) | instskip(NEXT) | instid1(VALU_DEP_4)
	v_add_f32_e32 v19, v16, v26
	v_add_f32_e32 v26, v3, v86
	v_fma_f32 v3, 0x3df6dbef, v10, -v8
	v_add_f32_e32 v16, v11, v29
	v_mul_f32_e32 v11, v83, v85
	s_delay_alu instid0(VALU_DEP_3) | instskip(SKIP_1) | instid1(VALU_DEP_3)
	v_add_f32_e32 v29, v3, v2
	v_fmac_f32_e32 v14, v83, v84
	v_fma_f32 v8, v82, v84, -v11
	s_wait_loadcnt 0x14
	s_delay_alu instid0(VALU_DEP_2) | instskip(SKIP_1) | instid1(VALU_DEP_2)
	v_dual_mul_f32 v11, v73, v77 :: v_dual_mul_f32 v10, v0, v14
	v_mul_f32_e32 v3, v1, v14
	v_fma_f32 v2, v1, v8, -v10
	s_delay_alu instid0(VALU_DEP_2) | instskip(NEXT) | instid1(VALU_DEP_4)
	v_fmac_f32_e32 v3, v0, v8
	v_fma_f32 v8, v72, v76, -v11
	s_wait_loadcnt 0x10
	v_mul_f32_e32 v11, v78, v81
	v_mul_f32_e32 v4, v62, v65
	s_delay_alu instid0(VALU_DEP_2) | instskip(NEXT) | instid1(VALU_DEP_2)
	v_dual_mul_f32 v10, v72, v77 :: v_dual_fmac_f32 v11, v79, v80
	v_fmac_f32_e32 v4, v63, v64
	s_delay_alu instid0(VALU_DEP_2) | instskip(NEXT) | instid1(VALU_DEP_2)
	v_fmac_f32_e32 v10, v73, v76
	v_mul_f32_e32 v14, v7, v4
	s_delay_alu instid0(VALU_DEP_2) | instskip(NEXT) | instid1(VALU_DEP_2)
	v_dual_mul_f32 v1, v9, v4 :: v_dual_mul_f32 v4, v12, v10
	v_fma_f32 v0, v9, v5, -v14
	v_mul_f32_e32 v9, v48, v53
	s_delay_alu instid0(VALU_DEP_3)
	v_fmac_f32_e32 v1, v7, v5
	v_mul_f32_e32 v7, v49, v53
	v_fma_f32 v4, v13, v8, -v4
	v_mul_f32_e32 v5, v13, v10
	v_fmac_f32_e32 v9, v49, v52
	v_mul_f32_e32 v13, v79, v81
	v_fma_f32 v10, v48, v52, -v7
	s_delay_alu instid0(VALU_DEP_3) | instskip(SKIP_1) | instid1(VALU_DEP_4)
	v_dual_fmac_f32 v5, v12, v8 :: v_dual_mul_f32 v14, v18, v9
	v_mul_f32_e32 v7, v6, v9
	v_fma_f32 v12, v78, v80, -v13
	s_wait_loadcnt 0xe
	v_mul_f32_e32 v13, v54, v57
	v_mul_f32_e32 v9, v15, v11
	v_fma_f32 v6, v6, v10, -v14
	s_wait_loadcnt 0xc
	v_mul_f32_e32 v14, v70, v75
	v_dual_fmac_f32 v7, v18, v10 :: v_dual_mul_f32 v10, v55, v57
	v_fmac_f32_e32 v13, v55, v56
	s_delay_alu instid0(VALU_DEP_3) | instskip(SKIP_1) | instid1(VALU_DEP_3)
	v_dual_fmac_f32 v9, v17, v12 :: v_dual_fmac_f32 v14, v71, v74
	v_mul_f32_e32 v8, v17, v11
	v_mul_f32_e32 v18, v27, v13
	v_mul_f32_e32 v11, v21, v13
	s_delay_alu instid0(VALU_DEP_4) | instskip(NEXT) | instid1(VALU_DEP_4)
	v_mul_f32_e32 v13, v16, v14
	v_fma_f32 v8, v15, v12, -v8
	v_fma_f32 v15, v54, v56, -v10
	v_mul_f32_e32 v10, v71, v75
	s_delay_alu instid0(VALU_DEP_2) | instskip(NEXT) | instid1(VALU_DEP_2)
	v_dual_mul_f32 v12, v26, v14 :: v_dual_fmac_f32 v11, v27, v15
	v_fma_f32 v17, v70, v74, -v10
	v_fma_f32 v10, v21, v15, -v18
	s_wait_loadcnt 0xa
	v_mul_f32_e32 v15, v47, v51
	v_mul_f32_e32 v18, v46, v51
	s_wait_loadcnt 0x8
	v_mul_f32_e32 v21, v66, v69
	v_fma_f32 v12, v16, v17, -v12
	v_fmac_f32_e32 v13, v26, v17
	v_fma_f32 v16, v46, v50, -v15
	v_fmac_f32_e32 v18, v47, v50
	v_mul_f32_e32 v14, v67, v69
	v_fmac_f32_e32 v21, v67, v68
	s_delay_alu instid0(VALU_DEP_3) | instskip(SKIP_1) | instid1(VALU_DEP_4)
	v_mul_f32_e32 v15, v28, v18
	v_mul_f32_e32 v27, v29, v18
	v_fma_f32 v18, v66, v68, -v14
	s_delay_alu instid0(VALU_DEP_4) | instskip(NEXT) | instid1(VALU_DEP_4)
	v_mul_f32_e32 v17, v22, v21
	v_fmac_f32_e32 v15, v29, v16
	s_delay_alu instid0(VALU_DEP_4)
	v_fma_f32 v14, v28, v16, -v27
	s_wait_loadcnt 0x4
	v_mul_f32_e32 v28, v58, v61
	v_mul_f32_e32 v27, v43, v45
	v_fma_f32 v16, v19, v18, -v17
	v_mul_f32_e32 v17, v19, v21
	s_delay_alu instid0(VALU_DEP_4) | instskip(SKIP_3) | instid1(VALU_DEP_3)
	v_fmac_f32_e32 v28, v59, v60
	v_mul_f32_e32 v26, v42, v45
	v_fma_f32 v21, v42, v44, -v27
	v_mul_f32_e32 v27, v59, v61
	v_dual_fmac_f32 v17, v22, v18 :: v_dual_fmac_f32 v26, v43, v44
	s_delay_alu instid0(VALU_DEP_2) | instskip(SKIP_2) | instid1(VALU_DEP_3)
	v_fma_f32 v22, v58, v60, -v27
	s_wait_loadcnt 0x0
	v_mul_f32_e32 v27, v34, v37
	v_mul_f32_e32 v29, v25, v26
	v_dual_mul_f32 v19, v24, v26 :: v_dual_mul_f32 v26, v23, v28
	s_delay_alu instid0(VALU_DEP_3) | instskip(NEXT) | instid1(VALU_DEP_3)
	v_fmac_f32_e32 v27, v35, v36
	v_fma_f32 v18, v24, v21, -v29
	s_delay_alu instid0(VALU_DEP_3) | instskip(SKIP_4) | instid1(VALU_DEP_4)
	v_fmac_f32_e32 v19, v25, v21
	v_mul_f32_e32 v21, v20, v28
	v_lshrrev_b32_e32 v25, 4, v139
	v_mul_f32_e32 v24, v38, v41
	v_fma_f32 v20, v20, v22, -v26
	v_fmac_f32_e32 v21, v23, v22
	s_delay_alu instid0(VALU_DEP_4) | instskip(SKIP_1) | instid1(VALU_DEP_2)
	v_mul_u32_u24_e32 v22, 0xc0, v25
	v_mul_f32_e32 v25, v35, v37
	v_or_b32_e32 v37, v22, v139
	v_fmac_f32_e32 v24, v39, v40
	v_mul_f32_e32 v26, v39, v41
	v_add_nc_u32_e32 v22, s6, v33
	v_mul_f32_e32 v28, v88, v27
	v_fma_f32 v30, v34, v36, -v25
	v_mul_f32_e32 v23, v90, v24
	v_fma_f32 v29, v38, v40, -v26
	v_mul_f32_e32 v24, v31, v24
	v_mul_f32_e32 v32, v89, v27
	v_fmac_f32_e32 v28, v89, v30
	v_mad_co_u64_u32 v[25:26], null, s8, v37, v[22:23]
	v_mov_b32_e32 v26, 0
	v_fma_f32 v23, v31, v29, -v23
	v_add_nc_u32_e32 v31, 16, v37
	v_fmac_f32_e32 v24, v90, v29
	v_fma_f32 v27, v88, v30, -v32
	v_lshlrev_b64_e32 v[29:30], 3, v[25:26]
	v_or_b32_e32 v25, 32, v37
	v_mad_co_u64_u32 v[31:32], null, s8, v31, v[22:23]
	v_mov_b32_e32 v32, v26
	s_delay_alu instid0(VALU_DEP_3)
	v_mad_co_u64_u32 v[33:34], null, s8, v25, v[22:23]
	v_add_nc_u32_e32 v25, 48, v37
	v_add_co_u32 v29, vcc_lo, s4, v29
	s_wait_alu 0xfffd
	v_add_co_ci_u32_e32 v30, vcc_lo, s5, v30, vcc_lo
	v_mov_b32_e32 v34, v26
	v_lshlrev_b64_e32 v[31:32], 3, v[31:32]
	v_mad_co_u64_u32 v[35:36], null, s8, v25, v[22:23]
	global_store_b64 v[29:30], v[2:3], off
	v_lshlrev_b64_e32 v[2:3], 3, v[33:34]
	v_dual_mov_b32 v36, v26 :: v_dual_add_nc_u32 v25, 64, v37
	v_add_co_u32 v29, vcc_lo, s4, v31
	s_wait_alu 0xfffd
	v_add_co_ci_u32_e32 v30, vcc_lo, s5, v32, vcc_lo
	s_delay_alu instid0(VALU_DEP_3)
	v_lshlrev_b64_e32 v[31:32], 3, v[35:36]
	v_add_co_u32 v2, vcc_lo, s4, v2
	v_mad_co_u64_u32 v[33:34], null, s8, v25, v[22:23]
	s_wait_alu 0xfffd
	v_add_co_ci_u32_e32 v3, vcc_lo, s5, v3, vcc_lo
	v_mov_b32_e32 v34, v26
	v_add_co_u32 v31, vcc_lo, s4, v31
	s_clause 0x1
	global_store_b64 v[29:30], v[0:1], off
	global_store_b64 v[2:3], v[4:5], off
	v_add_nc_u32_e32 v2, 0x50, v37
	s_wait_alu 0xfffd
	v_add_co_ci_u32_e32 v32, vcc_lo, s5, v32, vcc_lo
	v_lshlrev_b64_e32 v[0:1], 3, v[33:34]
	v_add_nc_u32_e32 v4, 0x60, v37
	v_mad_co_u64_u32 v[2:3], null, s8, v2, v[22:23]
	global_store_b64 v[31:32], v[6:7], off
	v_dual_mov_b32 v3, v26 :: v_dual_add_nc_u32 v6, 0x70, v37
	v_mad_co_u64_u32 v[4:5], null, s8, v4, v[22:23]
	v_add_co_u32 v0, vcc_lo, s4, v0
	s_wait_alu 0xfffd
	v_add_co_ci_u32_e32 v1, vcc_lo, s5, v1, vcc_lo
	v_mov_b32_e32 v5, v26
	v_mad_co_u64_u32 v[6:7], null, s8, v6, v[22:23]
	v_lshlrev_b64_e32 v[2:3], 3, v[2:3]
	v_mov_b32_e32 v7, v26
	global_store_b64 v[0:1], v[8:9], off
	v_lshlrev_b64_e32 v[0:1], 3, v[4:5]
	v_add_nc_u32_e32 v8, 0xc0, v37
	v_add_co_u32 v2, vcc_lo, s4, v2
	v_lshlrev_b64_e32 v[4:5], 3, v[6:7]
	s_wait_alu 0xfffd
	v_add_co_ci_u32_e32 v3, vcc_lo, s5, v3, vcc_lo
	v_add_nc_u32_e32 v6, 0x80, v37
	v_add_co_u32 v0, vcc_lo, s4, v0
	s_wait_alu 0xfffd
	v_add_co_ci_u32_e32 v1, vcc_lo, s5, v1, vcc_lo
	v_add_co_u32 v4, vcc_lo, s4, v4
	v_mad_co_u64_u32 v[8:9], null, s8, v8, v[22:23]
	v_mov_b32_e32 v9, v26
	v_mad_co_u64_u32 v[6:7], null, s8, v6, v[22:23]
	s_wait_alu 0xfffd
	v_add_co_ci_u32_e32 v5, vcc_lo, s5, v5, vcc_lo
	s_clause 0x1
	global_store_b64 v[2:3], v[10:11], off
	global_store_b64 v[0:1], v[12:13], off
	v_dual_mov_b32 v7, v26 :: v_dual_add_nc_u32 v2, 0x90, v37
	global_store_b64 v[4:5], v[14:15], off
	v_add_nc_u32_e32 v4, 0xa0, v37
	v_lshlrev_b64_e32 v[8:9], 3, v[8:9]
	v_mad_co_u64_u32 v[2:3], null, s8, v2, v[22:23]
	v_lshlrev_b64_e32 v[0:1], 3, v[6:7]
	v_dual_mov_b32 v3, v26 :: v_dual_add_nc_u32 v6, 0xb0, v37
	v_mad_co_u64_u32 v[4:5], null, s8, v4, v[22:23]
	v_mov_b32_e32 v5, v26
	s_delay_alu instid0(VALU_DEP_3) | instskip(NEXT) | instid1(VALU_DEP_4)
	v_mad_co_u64_u32 v[6:7], null, s8, v6, v[22:23]
	v_lshlrev_b64_e32 v[2:3], 3, v[2:3]
	v_mov_b32_e32 v7, v26
	v_add_co_u32 v0, vcc_lo, s4, v0
	v_lshlrev_b64_e32 v[4:5], 3, v[4:5]
	s_wait_alu 0xfffd
	v_add_co_ci_u32_e32 v1, vcc_lo, s5, v1, vcc_lo
	v_add_co_u32 v2, vcc_lo, s4, v2
	v_lshlrev_b64_e32 v[6:7], 3, v[6:7]
	s_wait_alu 0xfffd
	v_add_co_ci_u32_e32 v3, vcc_lo, s5, v3, vcc_lo
	v_add_co_u32 v4, vcc_lo, s4, v4
	s_wait_alu 0xfffd
	v_add_co_ci_u32_e32 v5, vcc_lo, s5, v5, vcc_lo
	v_add_co_u32 v6, vcc_lo, s4, v6
	;; [unrolled: 3-line block ×3, first 2 shown]
	s_wait_alu 0xfffd
	v_add_co_ci_u32_e32 v9, vcc_lo, s5, v9, vcc_lo
	s_clause 0x4
	global_store_b64 v[0:1], v[16:17], off
	global_store_b64 v[2:3], v[18:19], off
	;; [unrolled: 1-line block ×5, first 2 shown]
.LBB0_44:
	s_nop 0
	s_sendmsg sendmsg(MSG_DEALLOC_VGPRS)
	s_endpgm
	.section	.rodata,"a",@progbits
	.p2align	6, 0x0
	.amdhsa_kernel fft_rtc_fwd_len208_factors_2_8_13_wgs_247_tpt_13_dim3_sp_ip_CI_sbcc_twdbase8_2step_dirReg_intrinsicReadWrite
		.amdhsa_group_segment_fixed_size 0
		.amdhsa_private_segment_fixed_size 0
		.amdhsa_kernarg_size 88
		.amdhsa_user_sgpr_count 2
		.amdhsa_user_sgpr_dispatch_ptr 0
		.amdhsa_user_sgpr_queue_ptr 0
		.amdhsa_user_sgpr_kernarg_segment_ptr 1
		.amdhsa_user_sgpr_dispatch_id 0
		.amdhsa_user_sgpr_private_segment_size 0
		.amdhsa_wavefront_size32 1
		.amdhsa_uses_dynamic_stack 0
		.amdhsa_enable_private_segment 0
		.amdhsa_system_sgpr_workgroup_id_x 1
		.amdhsa_system_sgpr_workgroup_id_y 0
		.amdhsa_system_sgpr_workgroup_id_z 0
		.amdhsa_system_sgpr_workgroup_info 0
		.amdhsa_system_vgpr_workitem_id 0
		.amdhsa_next_free_vgpr 218
		.amdhsa_next_free_sgpr 26
		.amdhsa_reserve_vcc 1
		.amdhsa_float_round_mode_32 0
		.amdhsa_float_round_mode_16_64 0
		.amdhsa_float_denorm_mode_32 3
		.amdhsa_float_denorm_mode_16_64 3
		.amdhsa_fp16_overflow 0
		.amdhsa_workgroup_processor_mode 1
		.amdhsa_memory_ordered 1
		.amdhsa_forward_progress 0
		.amdhsa_round_robin_scheduling 0
		.amdhsa_exception_fp_ieee_invalid_op 0
		.amdhsa_exception_fp_denorm_src 0
		.amdhsa_exception_fp_ieee_div_zero 0
		.amdhsa_exception_fp_ieee_overflow 0
		.amdhsa_exception_fp_ieee_underflow 0
		.amdhsa_exception_fp_ieee_inexact 0
		.amdhsa_exception_int_div_zero 0
	.end_amdhsa_kernel
	.text
.Lfunc_end0:
	.size	fft_rtc_fwd_len208_factors_2_8_13_wgs_247_tpt_13_dim3_sp_ip_CI_sbcc_twdbase8_2step_dirReg_intrinsicReadWrite, .Lfunc_end0-fft_rtc_fwd_len208_factors_2_8_13_wgs_247_tpt_13_dim3_sp_ip_CI_sbcc_twdbase8_2step_dirReg_intrinsicReadWrite
                                        ; -- End function
	.section	.AMDGPU.csdata,"",@progbits
; Kernel info:
; codeLenInByte = 16240
; NumSgprs: 28
; NumVgprs: 218
; ScratchSize: 0
; MemoryBound: 0
; FloatMode: 240
; IeeeMode: 1
; LDSByteSize: 0 bytes/workgroup (compile time only)
; SGPRBlocks: 3
; VGPRBlocks: 27
; NumSGPRsForWavesPerEU: 28
; NumVGPRsForWavesPerEU: 218
; Occupancy: 6
; WaveLimiterHint : 1
; COMPUTE_PGM_RSRC2:SCRATCH_EN: 0
; COMPUTE_PGM_RSRC2:USER_SGPR: 2
; COMPUTE_PGM_RSRC2:TRAP_HANDLER: 0
; COMPUTE_PGM_RSRC2:TGID_X_EN: 1
; COMPUTE_PGM_RSRC2:TGID_Y_EN: 0
; COMPUTE_PGM_RSRC2:TGID_Z_EN: 0
; COMPUTE_PGM_RSRC2:TIDIG_COMP_CNT: 0
	.text
	.p2alignl 7, 3214868480
	.fill 96, 4, 3214868480
	.type	__hip_cuid_8623278cb29766ea,@object ; @__hip_cuid_8623278cb29766ea
	.section	.bss,"aw",@nobits
	.globl	__hip_cuid_8623278cb29766ea
__hip_cuid_8623278cb29766ea:
	.byte	0                               ; 0x0
	.size	__hip_cuid_8623278cb29766ea, 1

	.ident	"AMD clang version 19.0.0git (https://github.com/RadeonOpenCompute/llvm-project roc-6.4.0 25133 c7fe45cf4b819c5991fe208aaa96edf142730f1d)"
	.section	".note.GNU-stack","",@progbits
	.addrsig
	.addrsig_sym __hip_cuid_8623278cb29766ea
	.amdgpu_metadata
---
amdhsa.kernels:
  - .args:
      - .actual_access:  read_only
        .address_space:  global
        .offset:         0
        .size:           8
        .value_kind:     global_buffer
      - .address_space:  global
        .offset:         8
        .size:           8
        .value_kind:     global_buffer
      - .actual_access:  read_only
        .address_space:  global
        .offset:         16
        .size:           8
        .value_kind:     global_buffer
      - .actual_access:  read_only
        .address_space:  global
        .offset:         24
        .size:           8
        .value_kind:     global_buffer
      - .offset:         32
        .size:           8
        .value_kind:     by_value
      - .actual_access:  read_only
        .address_space:  global
        .offset:         40
        .size:           8
        .value_kind:     global_buffer
      - .actual_access:  read_only
        .address_space:  global
        .offset:         48
        .size:           8
        .value_kind:     global_buffer
      - .offset:         56
        .size:           4
        .value_kind:     by_value
      - .actual_access:  read_only
        .address_space:  global
        .offset:         64
        .size:           8
        .value_kind:     global_buffer
      - .actual_access:  read_only
        .address_space:  global
        .offset:         72
        .size:           8
        .value_kind:     global_buffer
      - .address_space:  global
        .offset:         80
        .size:           8
        .value_kind:     global_buffer
    .group_segment_fixed_size: 0
    .kernarg_segment_align: 8
    .kernarg_segment_size: 88
    .language:       OpenCL C
    .language_version:
      - 2
      - 0
    .max_flat_workgroup_size: 247
    .name:           fft_rtc_fwd_len208_factors_2_8_13_wgs_247_tpt_13_dim3_sp_ip_CI_sbcc_twdbase8_2step_dirReg_intrinsicReadWrite
    .private_segment_fixed_size: 0
    .sgpr_count:     28
    .sgpr_spill_count: 0
    .symbol:         fft_rtc_fwd_len208_factors_2_8_13_wgs_247_tpt_13_dim3_sp_ip_CI_sbcc_twdbase8_2step_dirReg_intrinsicReadWrite.kd
    .uniform_work_group_size: 1
    .uses_dynamic_stack: false
    .vgpr_count:     218
    .vgpr_spill_count: 0
    .wavefront_size: 32
    .workgroup_processor_mode: 1
amdhsa.target:   amdgcn-amd-amdhsa--gfx1201
amdhsa.version:
  - 1
  - 2
...

	.end_amdgpu_metadata
